;; amdgpu-corpus repo=ROCm/rocFFT kind=compiled arch=gfx1201 opt=O3
	.text
	.amdgcn_target "amdgcn-amd-amdhsa--gfx1201"
	.amdhsa_code_object_version 6
	.protected	fft_rtc_back_len2401_factors_7_7_7_7_wgs_49_tpt_49_halfLds_half_op_CI_CI_sbrr_dirReg ; -- Begin function fft_rtc_back_len2401_factors_7_7_7_7_wgs_49_tpt_49_halfLds_half_op_CI_CI_sbrr_dirReg
	.globl	fft_rtc_back_len2401_factors_7_7_7_7_wgs_49_tpt_49_halfLds_half_op_CI_CI_sbrr_dirReg
	.p2align	8
	.type	fft_rtc_back_len2401_factors_7_7_7_7_wgs_49_tpt_49_halfLds_half_op_CI_CI_sbrr_dirReg,@function
fft_rtc_back_len2401_factors_7_7_7_7_wgs_49_tpt_49_halfLds_half_op_CI_CI_sbrr_dirReg: ; @fft_rtc_back_len2401_factors_7_7_7_7_wgs_49_tpt_49_halfLds_half_op_CI_CI_sbrr_dirReg
; %bb.0:
	s_clause 0x2
	s_load_b128 s[12:15], s[0:1], 0x18
	s_load_b128 s[8:11], s[0:1], 0x0
	;; [unrolled: 1-line block ×3, first 2 shown]
	v_mul_u32_u24_e32 v1, 0x53a, v0
	v_mov_b32_e32 v3, 0
	s_wait_kmcnt 0x0
	s_load_b64 s[18:19], s[12:13], 0x0
	s_load_b64 s[16:17], s[14:15], 0x0
	v_lshrrev_b32_e32 v1, 16, v1
	v_cmp_lt_u64_e64 s2, s[10:11], 2
	s_delay_alu instid0(VALU_DEP_2)
	v_add_nc_u32_e32 v5, ttmp9, v1
	v_mov_b32_e32 v1, 0
	v_mov_b32_e32 v2, 0
	;; [unrolled: 1-line block ×3, first 2 shown]
	s_and_b32 vcc_lo, exec_lo, s2
	s_cbranch_vccnz .LBB0_8
; %bb.1:
	s_load_b64 s[2:3], s[0:1], 0x10
	v_mov_b32_e32 v1, 0
	v_mov_b32_e32 v2, 0
	s_add_nc_u64 s[20:21], s[14:15], 8
	s_add_nc_u64 s[22:23], s[12:13], 8
	s_mov_b64 s[24:25], 1
	s_delay_alu instid0(VALU_DEP_1)
	v_dual_mov_b32 v29, v2 :: v_dual_mov_b32 v28, v1
	s_wait_kmcnt 0x0
	s_add_nc_u64 s[26:27], s[2:3], 8
	s_mov_b32 s3, 0
.LBB0_2:                                ; =>This Inner Loop Header: Depth=1
	s_load_b64 s[28:29], s[26:27], 0x0
                                        ; implicit-def: $vgpr30_vgpr31
	s_mov_b32 s2, exec_lo
	s_wait_kmcnt 0x0
	v_or_b32_e32 v4, s29, v6
	s_delay_alu instid0(VALU_DEP_1)
	v_cmpx_ne_u64_e32 0, v[3:4]
	s_wait_alu 0xfffe
	s_xor_b32 s30, exec_lo, s2
	s_cbranch_execz .LBB0_4
; %bb.3:                                ;   in Loop: Header=BB0_2 Depth=1
	s_cvt_f32_u32 s2, s28
	s_cvt_f32_u32 s31, s29
	s_sub_nc_u64 s[36:37], 0, s[28:29]
	s_wait_alu 0xfffe
	s_delay_alu instid0(SALU_CYCLE_1) | instskip(SKIP_1) | instid1(SALU_CYCLE_2)
	s_fmamk_f32 s2, s31, 0x4f800000, s2
	s_wait_alu 0xfffe
	v_s_rcp_f32 s2, s2
	s_delay_alu instid0(TRANS32_DEP_1) | instskip(SKIP_1) | instid1(SALU_CYCLE_2)
	s_mul_f32 s2, s2, 0x5f7ffffc
	s_wait_alu 0xfffe
	s_mul_f32 s31, s2, 0x2f800000
	s_wait_alu 0xfffe
	s_delay_alu instid0(SALU_CYCLE_2) | instskip(SKIP_1) | instid1(SALU_CYCLE_2)
	s_trunc_f32 s31, s31
	s_wait_alu 0xfffe
	s_fmamk_f32 s2, s31, 0xcf800000, s2
	s_cvt_u32_f32 s35, s31
	s_wait_alu 0xfffe
	s_delay_alu instid0(SALU_CYCLE_1) | instskip(SKIP_1) | instid1(SALU_CYCLE_2)
	s_cvt_u32_f32 s34, s2
	s_wait_alu 0xfffe
	s_mul_u64 s[38:39], s[36:37], s[34:35]
	s_wait_alu 0xfffe
	s_mul_hi_u32 s41, s34, s39
	s_mul_i32 s40, s34, s39
	s_mul_hi_u32 s2, s34, s38
	s_mul_i32 s33, s35, s38
	s_wait_alu 0xfffe
	s_add_nc_u64 s[40:41], s[2:3], s[40:41]
	s_mul_hi_u32 s31, s35, s38
	s_mul_hi_u32 s42, s35, s39
	s_add_co_u32 s2, s40, s33
	s_wait_alu 0xfffe
	s_add_co_ci_u32 s2, s41, s31
	s_mul_i32 s38, s35, s39
	s_add_co_ci_u32 s39, s42, 0
	s_wait_alu 0xfffe
	s_add_nc_u64 s[38:39], s[2:3], s[38:39]
	s_wait_alu 0xfffe
	v_add_co_u32 v4, s2, s34, s38
	s_delay_alu instid0(VALU_DEP_1) | instskip(SKIP_1) | instid1(VALU_DEP_1)
	s_cmp_lg_u32 s2, 0
	s_add_co_ci_u32 s35, s35, s39
	v_readfirstlane_b32 s34, v4
	s_wait_alu 0xfffe
	s_delay_alu instid0(VALU_DEP_1)
	s_mul_u64 s[36:37], s[36:37], s[34:35]
	s_wait_alu 0xfffe
	s_mul_hi_u32 s39, s34, s37
	s_mul_i32 s38, s34, s37
	s_mul_hi_u32 s2, s34, s36
	s_mul_i32 s33, s35, s36
	s_wait_alu 0xfffe
	s_add_nc_u64 s[38:39], s[2:3], s[38:39]
	s_mul_hi_u32 s31, s35, s36
	s_mul_hi_u32 s34, s35, s37
	s_wait_alu 0xfffe
	s_add_co_u32 s2, s38, s33
	s_add_co_ci_u32 s2, s39, s31
	s_mul_i32 s36, s35, s37
	s_add_co_ci_u32 s37, s34, 0
	s_wait_alu 0xfffe
	s_add_nc_u64 s[36:37], s[2:3], s[36:37]
	s_wait_alu 0xfffe
	v_add_co_u32 v4, s2, v4, s36
	s_delay_alu instid0(VALU_DEP_1) | instskip(SKIP_1) | instid1(VALU_DEP_1)
	s_cmp_lg_u32 s2, 0
	s_add_co_ci_u32 s2, s35, s37
	v_mul_hi_u32 v13, v5, v4
	s_wait_alu 0xfffe
	v_mad_co_u64_u32 v[7:8], null, v5, s2, 0
	v_mad_co_u64_u32 v[9:10], null, v6, v4, 0
	;; [unrolled: 1-line block ×3, first 2 shown]
	s_delay_alu instid0(VALU_DEP_3) | instskip(SKIP_1) | instid1(VALU_DEP_4)
	v_add_co_u32 v4, vcc_lo, v13, v7
	s_wait_alu 0xfffd
	v_add_co_ci_u32_e32 v7, vcc_lo, 0, v8, vcc_lo
	s_delay_alu instid0(VALU_DEP_2) | instskip(SKIP_1) | instid1(VALU_DEP_2)
	v_add_co_u32 v4, vcc_lo, v4, v9
	s_wait_alu 0xfffd
	v_add_co_ci_u32_e32 v4, vcc_lo, v7, v10, vcc_lo
	s_wait_alu 0xfffd
	v_add_co_ci_u32_e32 v7, vcc_lo, 0, v12, vcc_lo
	s_delay_alu instid0(VALU_DEP_2) | instskip(SKIP_1) | instid1(VALU_DEP_2)
	v_add_co_u32 v4, vcc_lo, v4, v11
	s_wait_alu 0xfffd
	v_add_co_ci_u32_e32 v9, vcc_lo, 0, v7, vcc_lo
	s_delay_alu instid0(VALU_DEP_2) | instskip(SKIP_1) | instid1(VALU_DEP_3)
	v_mul_lo_u32 v10, s29, v4
	v_mad_co_u64_u32 v[7:8], null, s28, v4, 0
	v_mul_lo_u32 v11, s28, v9
	s_delay_alu instid0(VALU_DEP_2) | instskip(NEXT) | instid1(VALU_DEP_2)
	v_sub_co_u32 v7, vcc_lo, v5, v7
	v_add3_u32 v8, v8, v11, v10
	s_delay_alu instid0(VALU_DEP_1) | instskip(SKIP_1) | instid1(VALU_DEP_1)
	v_sub_nc_u32_e32 v10, v6, v8
	s_wait_alu 0xfffd
	v_subrev_co_ci_u32_e64 v10, s2, s29, v10, vcc_lo
	v_add_co_u32 v11, s2, v4, 2
	s_wait_alu 0xf1ff
	v_add_co_ci_u32_e64 v12, s2, 0, v9, s2
	v_sub_co_u32 v13, s2, v7, s28
	v_sub_co_ci_u32_e32 v8, vcc_lo, v6, v8, vcc_lo
	s_wait_alu 0xf1ff
	v_subrev_co_ci_u32_e64 v10, s2, 0, v10, s2
	s_delay_alu instid0(VALU_DEP_3) | instskip(NEXT) | instid1(VALU_DEP_3)
	v_cmp_le_u32_e32 vcc_lo, s28, v13
	v_cmp_eq_u32_e64 s2, s29, v8
	s_wait_alu 0xfffd
	v_cndmask_b32_e64 v13, 0, -1, vcc_lo
	v_cmp_le_u32_e32 vcc_lo, s29, v10
	s_wait_alu 0xfffd
	v_cndmask_b32_e64 v14, 0, -1, vcc_lo
	v_cmp_le_u32_e32 vcc_lo, s28, v7
	;; [unrolled: 3-line block ×3, first 2 shown]
	s_wait_alu 0xfffd
	v_cndmask_b32_e64 v15, 0, -1, vcc_lo
	v_cmp_eq_u32_e32 vcc_lo, s29, v10
	s_wait_alu 0xf1ff
	s_delay_alu instid0(VALU_DEP_2)
	v_cndmask_b32_e64 v7, v15, v7, s2
	s_wait_alu 0xfffd
	v_cndmask_b32_e32 v10, v14, v13, vcc_lo
	v_add_co_u32 v13, vcc_lo, v4, 1
	s_wait_alu 0xfffd
	v_add_co_ci_u32_e32 v14, vcc_lo, 0, v9, vcc_lo
	s_delay_alu instid0(VALU_DEP_3) | instskip(SKIP_1) | instid1(VALU_DEP_2)
	v_cmp_ne_u32_e32 vcc_lo, 0, v10
	s_wait_alu 0xfffd
	v_cndmask_b32_e32 v8, v14, v12, vcc_lo
	v_cndmask_b32_e32 v10, v13, v11, vcc_lo
	v_cmp_ne_u32_e32 vcc_lo, 0, v7
	s_wait_alu 0xfffd
	s_delay_alu instid0(VALU_DEP_2)
	v_dual_cndmask_b32 v31, v9, v8 :: v_dual_cndmask_b32 v30, v4, v10
.LBB0_4:                                ;   in Loop: Header=BB0_2 Depth=1
	s_wait_alu 0xfffe
	s_and_not1_saveexec_b32 s2, s30
	s_cbranch_execz .LBB0_6
; %bb.5:                                ;   in Loop: Header=BB0_2 Depth=1
	v_cvt_f32_u32_e32 v4, s28
	s_sub_co_i32 s30, 0, s28
	v_mov_b32_e32 v31, v3
	s_delay_alu instid0(VALU_DEP_2) | instskip(NEXT) | instid1(TRANS32_DEP_1)
	v_rcp_iflag_f32_e32 v4, v4
	v_mul_f32_e32 v4, 0x4f7ffffe, v4
	s_delay_alu instid0(VALU_DEP_1) | instskip(SKIP_1) | instid1(VALU_DEP_1)
	v_cvt_u32_f32_e32 v4, v4
	s_wait_alu 0xfffe
	v_mul_lo_u32 v7, s30, v4
	s_delay_alu instid0(VALU_DEP_1) | instskip(NEXT) | instid1(VALU_DEP_1)
	v_mul_hi_u32 v7, v4, v7
	v_add_nc_u32_e32 v4, v4, v7
	s_delay_alu instid0(VALU_DEP_1) | instskip(NEXT) | instid1(VALU_DEP_1)
	v_mul_hi_u32 v4, v5, v4
	v_mul_lo_u32 v7, v4, s28
	v_add_nc_u32_e32 v8, 1, v4
	s_delay_alu instid0(VALU_DEP_2) | instskip(NEXT) | instid1(VALU_DEP_1)
	v_sub_nc_u32_e32 v7, v5, v7
	v_subrev_nc_u32_e32 v9, s28, v7
	v_cmp_le_u32_e32 vcc_lo, s28, v7
	s_wait_alu 0xfffd
	s_delay_alu instid0(VALU_DEP_2) | instskip(NEXT) | instid1(VALU_DEP_1)
	v_dual_cndmask_b32 v7, v7, v9 :: v_dual_cndmask_b32 v4, v4, v8
	v_cmp_le_u32_e32 vcc_lo, s28, v7
	s_delay_alu instid0(VALU_DEP_2) | instskip(SKIP_1) | instid1(VALU_DEP_1)
	v_add_nc_u32_e32 v8, 1, v4
	s_wait_alu 0xfffd
	v_cndmask_b32_e32 v30, v4, v8, vcc_lo
.LBB0_6:                                ;   in Loop: Header=BB0_2 Depth=1
	s_wait_alu 0xfffe
	s_or_b32 exec_lo, exec_lo, s2
	v_mul_lo_u32 v4, v31, s28
	s_delay_alu instid0(VALU_DEP_2)
	v_mul_lo_u32 v9, v30, s29
	s_load_b64 s[30:31], s[22:23], 0x0
	v_mad_co_u64_u32 v[7:8], null, v30, s28, 0
	s_load_b64 s[28:29], s[20:21], 0x0
	s_add_nc_u64 s[24:25], s[24:25], 1
	s_add_nc_u64 s[20:21], s[20:21], 8
	s_wait_alu 0xfffe
	v_cmp_ge_u64_e64 s2, s[24:25], s[10:11]
	s_add_nc_u64 s[22:23], s[22:23], 8
	s_add_nc_u64 s[26:27], s[26:27], 8
	v_add3_u32 v4, v8, v9, v4
	v_sub_co_u32 v5, vcc_lo, v5, v7
	s_wait_alu 0xfffd
	s_delay_alu instid0(VALU_DEP_2) | instskip(SKIP_2) | instid1(VALU_DEP_1)
	v_sub_co_ci_u32_e32 v4, vcc_lo, v6, v4, vcc_lo
	s_and_b32 vcc_lo, exec_lo, s2
	s_wait_kmcnt 0x0
	v_mul_lo_u32 v6, s30, v4
	v_mul_lo_u32 v7, s31, v5
	v_mad_co_u64_u32 v[1:2], null, s30, v5, v[1:2]
	v_mul_lo_u32 v4, s28, v4
	v_mul_lo_u32 v8, s29, v5
	v_mad_co_u64_u32 v[28:29], null, s28, v5, v[28:29]
	s_delay_alu instid0(VALU_DEP_4) | instskip(NEXT) | instid1(VALU_DEP_2)
	v_add3_u32 v2, v7, v2, v6
	v_add3_u32 v29, v8, v29, v4
	s_wait_alu 0xfffe
	s_cbranch_vccnz .LBB0_9
; %bb.7:                                ;   in Loop: Header=BB0_2 Depth=1
	v_dual_mov_b32 v5, v30 :: v_dual_mov_b32 v6, v31
	s_branch .LBB0_2
.LBB0_8:
	s_delay_alu instid0(VALU_DEP_2) | instskip(NEXT) | instid1(VALU_DEP_2)
	v_dual_mov_b32 v29, v2 :: v_dual_mov_b32 v28, v1
	v_dual_mov_b32 v31, v6 :: v_dual_mov_b32 v30, v5
.LBB0_9:
	s_load_b64 s[0:1], s[0:1], 0x28
	v_mul_hi_u32 v45, 0x539782a, v0
	s_lshl_b64 s[10:11], s[10:11], 3
                                        ; implicit-def: $sgpr2
                                        ; implicit-def: $vgpr46
                                        ; implicit-def: $vgpr47
                                        ; implicit-def: $vgpr48
                                        ; implicit-def: $vgpr49
                                        ; implicit-def: $vgpr50
                                        ; implicit-def: $vgpr53
                                        ; implicit-def: $vgpr51
	s_wait_kmcnt 0x0
	v_cmp_gt_u64_e32 vcc_lo, s[0:1], v[30:31]
	v_cmp_le_u64_e64 s0, s[0:1], v[30:31]
	s_delay_alu instid0(VALU_DEP_1)
	s_and_saveexec_b32 s1, s0
	s_wait_alu 0xfffe
	s_xor_b32 s0, exec_lo, s1
; %bb.10:
	v_mul_u32_u24_e32 v1, 49, v45
	s_mov_b32 s2, 0
                                        ; implicit-def: $vgpr45
	s_delay_alu instid0(VALU_DEP_1) | instskip(NEXT) | instid1(VALU_DEP_1)
	v_sub_nc_u32_e32 v46, v0, v1
                                        ; implicit-def: $vgpr0
                                        ; implicit-def: $vgpr1_vgpr2
	v_add_nc_u32_e32 v47, 49, v46
	v_add_nc_u32_e32 v48, 0x62, v46
	;; [unrolled: 1-line block ×6, first 2 shown]
; %bb.11:
	s_wait_alu 0xfffe
	s_or_saveexec_b32 s1, s0
	v_dual_mov_b32 v52, s2 :: v_dual_mov_b32 v5, s2
	v_dual_mov_b32 v44, s2 :: v_dual_mov_b32 v33, s2
	;; [unrolled: 1-line block ×11, first 2 shown]
	v_mov_b32_e32 v66, s2
	v_mov_b32_e32 v68, s2
	;; [unrolled: 1-line block ×6, first 2 shown]
	s_add_nc_u64 s[2:3], s[14:15], s[10:11]
                                        ; implicit-def: $vgpr18
                                        ; implicit-def: $vgpr20
                                        ; implicit-def: $vgpr19
                                        ; implicit-def: $vgpr21
                                        ; implicit-def: $vgpr11
                                        ; implicit-def: $vgpr23
                                        ; implicit-def: $vgpr27
                                        ; implicit-def: $vgpr32
                                        ; implicit-def: $vgpr7
                                        ; implicit-def: $vgpr37
                                        ; implicit-def: $vgpr6
                                        ; implicit-def: $vgpr40
                                        ; implicit-def: $vgpr43
                                        ; implicit-def: $vgpr69
                                        ; implicit-def: $vgpr3
                                        ; implicit-def: $vgpr12
                                        ; implicit-def: $vgpr15
                                        ; implicit-def: $vgpr17
                                        ; implicit-def: $vgpr24
                                        ; implicit-def: $vgpr26
                                        ; implicit-def: $vgpr35
                                        ; implicit-def: $vgpr36
                                        ; implicit-def: $vgpr38
                                        ; implicit-def: $vgpr39
                                        ; implicit-def: $vgpr41
                                        ; implicit-def: $vgpr42
                                        ; implicit-def: $vgpr70
                                        ; implicit-def: $vgpr65
	s_wait_alu 0xfffe
	s_xor_b32 exec_lo, exec_lo, s1
	s_cbranch_execz .LBB0_13
; %bb.12:
	s_add_nc_u64 s[10:11], s[12:13], s[10:11]
	v_mul_u32_u24_e32 v3, 49, v45
	s_load_b64 s[10:11], s[10:11], 0x0
	s_delay_alu instid0(VALU_DEP_1) | instskip(SKIP_1) | instid1(VALU_DEP_2)
	v_sub_nc_u32_e32 v46, v0, v3
	v_lshlrev_b64_e32 v[0:1], 2, v[1:2]
	v_mad_co_u64_u32 v[3:4], null, s18, v46, 0
	v_add_nc_u32_e32 v15, 0x157, v46
	v_add_nc_u32_e32 v18, 0x2ae, v46
	;; [unrolled: 1-line block ×6, first 2 shown]
	v_mov_b32_e32 v2, v4
	v_mad_co_u64_u32 v[5:6], null, s18, v15, 0
	s_wait_kmcnt 0x0
	v_mul_lo_u32 v4, s11, v30
	v_mul_lo_u32 v16, s10, v31
	v_mad_co_u64_u32 v[9:10], null, s10, v30, 0
	v_mad_co_u64_u32 v[7:8], null, s18, v18, 0
	;; [unrolled: 1-line block ×3, first 2 shown]
	v_dual_mov_b32 v2, v6 :: v_dual_add_nc_u32 v19, 0x405, v46
	s_delay_alu instid0(VALU_DEP_4) | instskip(NEXT) | instid1(VALU_DEP_4)
	v_add3_u32 v10, v10, v16, v4
	v_dual_mov_b32 v6, v8 :: v_dual_add_nc_u32 v47, 49, v46
	s_delay_alu instid0(VALU_DEP_3) | instskip(NEXT) | instid1(VALU_DEP_3)
	v_mad_co_u64_u32 v[13:14], null, s18, v19, 0
	v_lshlrev_b64_e32 v[8:9], 2, v[9:10]
	v_mov_b32_e32 v4, v11
	s_delay_alu instid0(VALU_DEP_4) | instskip(SKIP_1) | instid1(VALU_DEP_4)
	v_mad_co_u64_u32 v[10:11], null, s19, v18, v[6:7]
	v_mad_co_u64_u32 v[15:16], null, s19, v15, v[2:3]
	v_add_co_u32 v11, s0, s4, v8
	s_delay_alu instid0(VALU_DEP_4) | instskip(SKIP_2) | instid1(VALU_DEP_3)
	v_lshlrev_b64_e32 v[3:4], 2, v[3:4]
	s_wait_alu 0xf1ff
	v_add_co_ci_u32_e64 v9, s0, s5, v9, s0
	v_add_co_u32 v12, s0, v11, v0
	v_mad_co_u64_u32 v[16:17], null, s18, v20, 0
	v_mov_b32_e32 v6, v15
	s_wait_alu 0xf1ff
	v_add_co_ci_u32_e64 v15, s0, v9, v1, s0
	v_dual_mov_b32 v2, v14 :: v_dual_add_nc_u32 v25, 0x188, v46
	v_add_co_u32 v3, s0, v12, v3
	v_dual_mov_b32 v8, v10 :: v_dual_add_nc_u32 v27, 0x2df, v46
	v_lshlrev_b64_e32 v[0:1], 2, v[5:6]
	s_delay_alu instid0(VALU_DEP_3) | instskip(NEXT) | instid1(VALU_DEP_3)
	v_mad_co_u64_u32 v[5:6], null, s19, v19, v[2:3]
	v_lshlrev_b64_e32 v[6:7], 2, v[7:8]
	v_mov_b32_e32 v2, v17
	s_wait_alu 0xf1ff
	v_add_co_ci_u32_e64 v4, s0, v15, v4, s0
	v_add_nc_u32_e32 v18, 0x6b3, v46
	v_add_co_u32 v0, s0, v12, v0
	s_wait_alu 0xf1ff
	v_add_co_ci_u32_e64 v1, s0, v15, v1, s0
	v_mad_co_u64_u32 v[10:11], null, s19, v20, v[2:3]
	v_mov_b32_e32 v14, v5
	v_add_co_u32 v5, s0, v12, v6
	v_mad_co_u64_u32 v[8:9], null, s18, v18, 0
	s_wait_alu 0xf1ff
	v_add_co_ci_u32_e64 v6, s0, v15, v7, s0
	v_add_nc_u32_e32 v7, 0x80a, v46
	v_mov_b32_e32 v17, v10
	v_lshlrev_b64_e32 v[13:14], 2, v[13:14]
	v_mad_co_u64_u32 v[23:24], null, s18, v27, 0
	s_delay_alu instid0(VALU_DEP_4)
	v_mad_co_u64_u32 v[10:11], null, s18, v7, 0
	v_mov_b32_e32 v2, v9
	v_lshlrev_b64_e32 v[16:17], 2, v[16:17]
	v_add_co_u32 v13, s0, v12, v13
	s_wait_alu 0xf1ff
	v_add_co_ci_u32_e64 v14, s0, v15, v14, s0
	v_mad_co_u64_u32 v[18:19], null, s19, v18, v[2:3]
	v_mov_b32_e32 v2, v11
	v_mad_co_u64_u32 v[19:20], null, s18, v47, 0
	v_add_co_u32 v16, s0, v12, v16
	s_delay_alu instid0(VALU_DEP_3)
	v_mad_co_u64_u32 v[21:22], null, s19, v7, v[2:3]
	v_mov_b32_e32 v9, v18
	s_wait_alu 0xf1ff
	v_add_co_ci_u32_e64 v17, s0, v15, v17, s0
	v_mov_b32_e32 v2, v20
	v_add_nc_u32_e32 v40, 0x7a8, v46
	v_lshlrev_b64_e32 v[7:8], 2, v[8:9]
	v_mov_b32_e32 v11, v21
	v_add_nc_u32_e32 v49, 0x93, v46
	v_mad_co_u64_u32 v[20:21], null, s19, v47, v[2:3]
	v_mad_co_u64_u32 v[21:22], null, s18, v25, 0
	s_delay_alu instid0(VALU_DEP_4) | instskip(SKIP_4) | instid1(VALU_DEP_4)
	v_lshlrev_b64_e32 v[9:10], 2, v[10:11]
	v_add_co_u32 v7, s0, v12, v7
	s_wait_alu 0xf1ff
	v_add_co_ci_u32_e64 v8, s0, v15, v8, s0
	v_lshlrev_b64_e32 v[18:19], 2, v[19:20]
	v_add_co_u32 v9, s0, v12, v9
	s_wait_alu 0xf1ff
	v_add_co_ci_u32_e64 v10, s0, v15, v10, s0
	v_mov_b32_e32 v2, v22
	s_delay_alu instid0(VALU_DEP_4)
	v_add_co_u32 v18, s0, v12, v18
	s_wait_alu 0xf1ff
	v_add_co_ci_u32_e64 v19, s0, v15, v19, s0
	s_clause 0x7
	global_load_b32 v44, v[3:4], off
	global_load_b32 v52, v[0:1], off
	;; [unrolled: 1-line block ×8, first 2 shown]
	v_mad_co_u64_u32 v[25:26], null, s19, v25, v[2:3]
	v_dual_mov_b32 v2, v24 :: v_dual_add_nc_u32 v11, 0x436, v46
	v_add_nc_u32_e32 v13, 0x58d, v46
	v_add_nc_u32_e32 v18, 0x83b, v46
	v_mad_co_u64_u32 v[73:74], null, s18, v40, 0
	v_mov_b32_e32 v22, v25
	v_mad_co_u64_u32 v[24:25], null, s19, v27, v[2:3]
	v_mad_co_u64_u32 v[25:26], null, s18, v11, 0
	;; [unrolled: 1-line block ×4, first 2 shown]
	s_delay_alu instid0(VALU_DEP_4)
	v_lshlrev_b64_e32 v[7:8], 2, v[23:24]
	v_add_nc_u32_e32 v24, 0x310, v46
	v_dual_mov_b32 v2, v26 :: v_dual_add_nc_u32 v35, 0x498, v46
	v_add_nc_u32_e32 v53, 0xf5, v46
	v_add_nc_u32_e32 v51, 0x651, v46
	;; [unrolled: 1-line block ×3, first 2 shown]
	s_delay_alu instid0(VALU_DEP_4) | instskip(SKIP_4) | instid1(VALU_DEP_4)
	v_mad_co_u64_u32 v[2:3], null, s19, v11, v[2:3]
	v_add_nc_u32_e32 v11, 0x6e4, v46
	v_mov_b32_e32 v3, v6
	v_mad_co_u64_u32 v[32:33], null, s18, v35, 0
	v_mad_co_u64_u32 v[64:65], null, s18, v53, 0
	;; [unrolled: 1-line block ×3, first 2 shown]
	v_mov_b32_e32 v26, v2
	v_mad_co_u64_u32 v[75:76], null, s18, v51, 0
	s_wait_loadcnt 0x0
	v_mad_co_u64_u32 v[2:3], null, s19, v13, v[3:4]
	s_delay_alu instid0(VALU_DEP_4) | instskip(SKIP_2) | instid1(VALU_DEP_4)
	v_mov_b32_e32 v3, v10
	v_lshlrev_b64_e32 v[13:14], 2, v[25:26]
	v_add_nc_u32_e32 v26, 0x1ea, v46
	v_mov_b32_e32 v6, v2
	s_delay_alu instid0(VALU_DEP_4) | instskip(SKIP_1) | instid1(VALU_DEP_3)
	v_mad_co_u64_u32 v[2:3], null, s19, v11, v[3:4]
	v_mov_b32_e32 v3, v17
	v_lshlrev_b64_e32 v[5:6], 2, v[5:6]
	s_delay_alu instid0(VALU_DEP_3) | instskip(NEXT) | instid1(VALU_DEP_3)
	v_mov_b32_e32 v10, v2
	v_mad_co_u64_u32 v[2:3], null, s19, v18, v[3:4]
	v_mad_co_u64_u32 v[18:19], null, s18, v48, 0
	s_delay_alu instid0(VALU_DEP_2) | instskip(SKIP_3) | instid1(VALU_DEP_4)
	v_mov_b32_e32 v17, v2
	v_lshlrev_b64_e32 v[0:1], 2, v[21:22]
	v_add_nc_u32_e32 v22, 0x1b9, v46
	v_lshlrev_b64_e32 v[2:3], 2, v[9:10]
	v_lshlrev_b64_e32 v[16:17], 2, v[16:17]
	s_delay_alu instid0(VALU_DEP_4)
	v_add_co_u32 v0, s0, v12, v0
	s_wait_alu 0xf1ff
	v_add_co_ci_u32_e64 v1, s0, v15, v1, s0
	v_add_co_u32 v7, s0, v12, v7
	s_wait_alu 0xf1ff
	v_add_co_ci_u32_e64 v8, s0, v15, v8, s0
	v_add_co_u32 v13, s0, v12, v13
	v_mad_co_u64_u32 v[9:10], null, s18, v22, 0
	s_wait_alu 0xf1ff
	v_add_co_ci_u32_e64 v14, s0, v15, v14, s0
	v_add_co_u32 v20, s0, v12, v5
	v_mov_b32_e32 v5, v19
	s_wait_alu 0xf1ff
	v_add_co_ci_u32_e64 v21, s0, v15, v6, s0
	v_add_co_u32 v2, s0, v12, v2
	s_delay_alu instid0(VALU_DEP_3)
	v_mad_co_u64_u32 v[5:6], null, s19, v48, v[5:6]
	v_mov_b32_e32 v6, v10
	s_wait_alu 0xf1ff
	v_add_co_ci_u32_e64 v3, s0, v15, v3, s0
	v_add_co_u32 v10, s0, v12, v16
	s_wait_alu 0xf1ff
	v_add_co_ci_u32_e64 v11, s0, v15, v17, s0
	v_mad_co_u64_u32 v[16:17], null, s19, v22, v[6:7]
	v_mad_co_u64_u32 v[22:23], null, s18, v24, 0
	v_mov_b32_e32 v19, v5
	s_clause 0x5
	global_load_b32 v5, v[0:1], off
	global_load_b32 v56, v[7:8], off
	;; [unrolled: 1-line block ×6, first 2 shown]
	v_add_nc_u32_e32 v11, 0x467, v46
	v_dual_mov_b32 v10, v16 :: v_dual_add_nc_u32 v21, 0x715, v46
	v_lshlrev_b64_e32 v[0:1], 2, v[18:19]
	v_add_nc_u32_e32 v18, 0x5be, v46
	v_mov_b32_e32 v2, v23
	v_mad_co_u64_u32 v[7:8], null, s18, v11, 0
	s_delay_alu instid0(VALU_DEP_3) | instskip(NEXT) | instid1(VALU_DEP_3)
	v_mad_co_u64_u32 v[13:14], null, s18, v18, 0
	v_mad_co_u64_u32 v[2:3], null, s19, v24, v[2:3]
	v_add_co_u32 v0, s0, v12, v0
	s_delay_alu instid0(VALU_DEP_4)
	v_mov_b32_e32 v3, v8
	v_lshlrev_b64_e32 v[8:9], 2, v[9:10]
	v_mov_b32_e32 v10, v14
	s_wait_alu 0xf1ff
	v_add_co_ci_u32_e64 v1, s0, v15, v1, s0
	v_mov_b32_e32 v23, v2
	v_mad_co_u64_u32 v[16:17], null, s19, v11, v[3:4]
	v_mad_co_u64_u32 v[10:11], null, s19, v18, v[10:11]
	s_delay_alu instid0(VALU_DEP_3) | instskip(SKIP_4) | instid1(VALU_DEP_3)
	v_lshlrev_b64_e32 v[17:18], 2, v[22:23]
	v_add_nc_u32_e32 v22, 0x86c, v46
	v_add_co_u32 v2, s0, v12, v8
	s_wait_alu 0xf1ff
	v_add_co_ci_u32_e64 v3, s0, v15, v9, s0
	v_mad_co_u64_u32 v[19:20], null, s18, v22, 0
	v_mov_b32_e32 v14, v10
	v_mad_co_u64_u32 v[9:10], null, s18, v21, 0
	v_mov_b32_e32 v8, v16
	;; [unrolled: 2-line block ×3, first 2 shown]
	v_add_co_u32 v16, s0, v12, v17
	s_delay_alu instid0(VALU_DEP_4)
	v_lshlrev_b64_e32 v[7:8], 2, v[7:8]
	s_wait_alu 0xf1ff
	v_add_co_ci_u32_e64 v17, s0, v15, v18, s0
	v_mad_co_u64_u32 v[20:21], null, s19, v21, v[10:11]
	v_mad_co_u64_u32 v[21:22], null, s19, v22, v[11:12]
	;; [unrolled: 1-line block ×3, first 2 shown]
	v_lshlrev_b64_e32 v[13:14], 2, v[13:14]
	v_add_co_u32 v7, s0, v12, v7
	v_mov_b32_e32 v10, v20
	v_mov_b32_e32 v20, v21
	s_wait_alu 0xf1ff
	v_add_co_ci_u32_e64 v8, s0, v15, v8, s0
	v_mov_b32_e32 v11, v23
	v_lshlrev_b64_e32 v[9:10], 2, v[9:10]
	v_lshlrev_b64_e32 v[18:19], 2, v[19:20]
	v_add_co_u32 v13, s0, v12, v13
	s_delay_alu instid0(VALU_DEP_4)
	v_mad_co_u64_u32 v[20:21], null, s19, v49, v[11:12]
	v_mov_b32_e32 v11, v25
	s_wait_alu 0xf1ff
	v_add_co_ci_u32_e64 v14, s0, v15, v14, s0
	v_add_co_u32 v9, s0, v12, v9
	s_wait_alu 0xf1ff
	v_add_co_ci_u32_e64 v10, s0, v15, v10, s0
	v_mov_b32_e32 v23, v20
	v_mad_co_u64_u32 v[20:21], null, s19, v26, v[11:12]
	v_mad_co_u64_u32 v[26:27], null, s18, v34, 0
	v_add_co_u32 v18, s0, v12, v18
	s_wait_alu 0xf1ff
	v_add_co_ci_u32_e64 v19, s0, v15, v19, s0
	s_clause 0x4
	global_load_b32 v63, v[16:17], off
	global_load_b32 v88, v[7:8], off
	;; [unrolled: 1-line block ×5, first 2 shown]
	v_dual_mov_b32 v11, v33 :: v_dual_mov_b32 v10, v27
	v_add_nc_u32_e32 v18, 0x5ef, v46
	v_lshlrev_b64_e32 v[8:9], 2, v[22:23]
	v_dual_mov_b32 v25, v20 :: v_dual_add_nc_u32 v22, 0x746, v46
	s_delay_alu instid0(VALU_DEP_4) | instskip(NEXT) | instid1(VALU_DEP_4)
	v_mad_co_u64_u32 v[13:14], null, s19, v34, v[10:11]
	v_mad_co_u64_u32 v[16:17], null, s18, v18, 0
	;; [unrolled: 1-line block ×3, first 2 shown]
	v_add_co_u32 v20, s0, v12, v8
	s_delay_alu instid0(VALU_DEP_4)
	v_mov_b32_e32 v27, v13
	v_mad_co_u64_u32 v[13:14], null, s18, v22, 0
	v_mov_b32_e32 v11, v17
	s_wait_alu 0xf1ff
	v_add_co_ci_u32_e64 v21, s0, v15, v9, s0
	v_lshlrev_b64_e32 v[8:9], 2, v[24:25]
	v_mov_b32_e32 v33, v10
	v_mad_co_u64_u32 v[10:11], null, s19, v18, v[11:12]
	v_lshlrev_b64_e32 v[25:26], 2, v[26:27]
	v_add_nc_u32_e32 v27, 0x89d, v46
	v_add_co_u32 v23, s0, v12, v8
	v_mov_b32_e32 v8, v14
	s_wait_alu 0xf1ff
	v_add_co_ci_u32_e64 v24, s0, v15, v9, s0
	v_mov_b32_e32 v17, v10
	v_lshlrev_b64_e32 v[18:19], 2, v[32:33]
	v_mad_co_u64_u32 v[8:9], null, s19, v22, v[8:9]
	v_mad_co_u64_u32 v[9:10], null, s18, v27, 0
	;; [unrolled: 1-line block ×3, first 2 shown]
	v_lshlrev_b64_e32 v[16:17], 2, v[16:17]
	v_add_nc_u32_e32 v22, 0x21b, v46
	v_mov_b32_e32 v14, v8
	v_add_co_u32 v18, s0, v12, v18
	v_mov_b32_e32 v8, v10
	s_wait_alu 0xf1ff
	v_add_co_ci_u32_e64 v19, s0, v15, v19, s0
	v_lshlrev_b64_e32 v[10:11], 2, v[13:14]
	v_add_co_u32 v16, s0, v12, v16
	v_mad_co_u64_u32 v[13:14], null, s19, v27, v[8:9]
	v_mov_b32_e32 v8, v33
	v_mad_co_u64_u32 v[35:36], null, s18, v22, 0
	s_wait_alu 0xf1ff
	v_add_co_ci_u32_e64 v17, s0, v15, v17, s0
	v_add_co_u32 v33, s0, v12, v10
	v_dual_mov_b32 v10, v13 :: v_dual_add_nc_u32 v27, 0x372, v46
	v_mad_co_u64_u32 v[37:38], null, s19, v50, v[8:9]
	s_wait_alu 0xf1ff
	v_add_co_ci_u32_e64 v34, s0, v15, v11, s0
	s_delay_alu instid0(VALU_DEP_3)
	v_lshlrev_b64_e32 v[8:9], 2, v[9:10]
	v_mov_b32_e32 v10, v36
	v_mad_co_u64_u32 v[13:14], null, s18, v27, 0
	s_clause 0x2
	global_load_b32 v90, v[18:19], off
	global_load_b32 v55, v[16:17], off
	;; [unrolled: 1-line block ×3, first 2 shown]
	v_mov_b32_e32 v33, v37
	v_mad_co_u64_u32 v[10:11], null, s19, v22, v[10:11]
	v_add_nc_u32_e32 v22, 0x4c9, v46
	v_add_co_u32 v16, s0, v12, v8
	v_mov_b32_e32 v11, v14
	s_wait_alu 0xf1ff
	v_add_co_ci_u32_e64 v17, s0, v15, v9, s0
	v_lshlrev_b64_e32 v[8:9], 2, v[32:33]
	v_mad_co_u64_u32 v[18:19], null, s18, v22, 0
	v_mov_b32_e32 v36, v10
	v_mad_co_u64_u32 v[10:11], null, s19, v27, v[11:12]
	v_add_nc_u32_e32 v27, 0x620, v46
	v_add_co_u32 v32, s0, v12, v8
	s_wait_alu 0xf1ff
	v_add_co_ci_u32_e64 v33, s0, v15, v9, s0
	v_lshlrev_b64_e32 v[8:9], 2, v[35:36]
	v_mov_b32_e32 v11, v19
	v_mad_co_u64_u32 v[34:35], null, s18, v27, 0
	v_mov_b32_e32 v14, v10
	s_delay_alu instid0(VALU_DEP_3) | instskip(SKIP_1) | instid1(VALU_DEP_4)
	v_mad_co_u64_u32 v[10:11], null, s19, v22, v[11:12]
	v_add_co_u32 v36, s0, v12, v8
	v_mov_b32_e32 v8, v35
	v_add_nc_u32_e32 v22, 0x777, v46
	s_wait_alu 0xf1ff
	v_add_co_ci_u32_e64 v37, s0, v15, v9, s0
	v_mov_b32_e32 v19, v10
	v_mad_co_u64_u32 v[8:9], null, s19, v27, v[8:9]
	v_add_nc_u32_e32 v27, 0x8ce, v46
	v_lshlrev_b64_e32 v[13:14], 2, v[13:14]
	v_mad_co_u64_u32 v[38:39], null, s18, v22, 0
	v_lshlrev_b64_e32 v[9:10], 2, v[18:19]
	s_delay_alu instid0(VALU_DEP_4) | instskip(NEXT) | instid1(VALU_DEP_4)
	v_mad_co_u64_u32 v[18:19], null, s18, v27, 0
	v_add_co_u32 v67, s0, v12, v13
	s_wait_alu 0xf1ff
	v_add_co_ci_u32_e64 v68, s0, v15, v14, s0
	s_delay_alu instid0(VALU_DEP_4) | instskip(SKIP_4) | instid1(VALU_DEP_3)
	v_add_co_u32 v69, s0, v12, v9
	v_mov_b32_e32 v11, v39
	s_wait_alu 0xf1ff
	v_add_co_ci_u32_e64 v70, s0, v15, v10, s0
	v_dual_mov_b32 v10, v19 :: v_dual_mov_b32 v35, v8
	v_mad_co_u64_u32 v[13:14], null, s19, v22, v[11:12]
	v_dual_mov_b32 v11, v65 :: v_dual_add_nc_u32 v22, 0x24c, v46
	s_delay_alu instid0(VALU_DEP_3) | instskip(NEXT) | instid1(VALU_DEP_2)
	v_lshlrev_b64_e32 v[8:9], 2, v[34:35]
	v_mad_co_u64_u32 v[34:35], null, s18, v22, 0
	s_delay_alu instid0(VALU_DEP_4) | instskip(NEXT) | instid1(VALU_DEP_4)
	v_mov_b32_e32 v39, v13
	v_mad_co_u64_u32 v[13:14], null, s19, v27, v[10:11]
	v_mad_co_u64_u32 v[10:11], null, s19, v53, v[11:12]
	v_add_nc_u32_e32 v27, 0x3a3, v46
	v_mov_b32_e32 v11, v35
	v_lshlrev_b64_e32 v[38:39], 2, v[38:39]
	v_add_co_u32 v8, s0, v12, v8
	v_mov_b32_e32 v19, v13
	v_mad_co_u64_u32 v[13:14], null, s18, v27, 0
	v_mov_b32_e32 v65, v10
	v_mad_co_u64_u32 v[10:11], null, s19, v22, v[11:12]
	v_add_nc_u32_e32 v22, 0x4fa, v46
	v_lshlrev_b64_e32 v[18:19], 2, v[18:19]
	s_wait_alu 0xf1ff
	v_add_co_ci_u32_e64 v9, s0, v15, v9, s0
	v_mov_b32_e32 v11, v14
	v_mad_co_u64_u32 v[71:72], null, s18, v22, 0
	v_mov_b32_e32 v35, v10
	v_add_co_u32 v38, s0, v12, v38
	s_delay_alu instid0(VALU_DEP_4)
	v_mad_co_u64_u32 v[10:11], null, s19, v27, v[11:12]
	v_lshlrev_b64_e32 v[64:65], 2, v[64:65]
	v_mov_b32_e32 v11, v72
	s_wait_alu 0xf1ff
	v_add_co_ci_u32_e64 v39, s0, v15, v39, s0
	v_mov_b32_e32 v27, v76
	v_add_co_u32 v18, s0, v12, v18
	v_mov_b32_e32 v14, v10
	v_mad_co_u64_u32 v[10:11], null, s19, v22, v[11:12]
	v_lshlrev_b64_e32 v[34:35], 2, v[34:35]
	s_wait_alu 0xf1ff
	v_add_co_ci_u32_e64 v19, s0, v15, v19, s0
	v_add_co_u32 v64, s0, v12, v64
	v_lshlrev_b64_e32 v[13:14], 2, v[13:14]
	v_mov_b32_e32 v72, v10
	v_mad_co_u64_u32 v[79:80], null, s19, v51, v[27:28]
	v_add_nc_u32_e32 v51, 0x126, v46
	s_wait_alu 0xf1ff
	v_add_co_ci_u32_e64 v65, s0, v15, v65, s0
	v_lshlrev_b64_e32 v[10:11], 2, v[71:72]
	v_mad_co_u64_u32 v[71:72], null, s18, v57, 0
	v_add_co_u32 v34, s0, v12, v34
	v_dual_mov_b32 v22, v74 :: v_dual_add_nc_u32 v27, 0x3d4, v46
	s_wait_alu 0xf1ff
	v_add_co_ci_u32_e64 v35, s0, v15, v35, s0
	v_add_co_u32 v13, s0, v12, v13
	s_wait_alu 0xf1ff
	v_add_co_ci_u32_e64 v14, s0, v15, v14, s0
	v_mad_co_u64_u32 v[76:77], null, s19, v40, v[22:23]
	v_add_co_u32 v77, s0, v12, v10
	v_mov_b32_e32 v10, v72
	s_wait_alu 0xf1ff
	v_add_co_ci_u32_e64 v78, s0, v15, v11, s0
	v_add_nc_u32_e32 v22, 0x27d, v46
	v_mov_b32_e32 v74, v76
	v_mad_co_u64_u32 v[80:81], null, s19, v57, v[10:11]
	s_clause 0x6
	global_load_b32 v66, v[8:9], off
	global_load_b32 v92, v[38:39], off
	;; [unrolled: 1-line block ×7, first 2 shown]
	v_mad_co_u64_u32 v[81:82], null, s18, v51, 0
	v_mad_co_u64_u32 v[18:19], null, s18, v22, 0
	;; [unrolled: 1-line block ×3, first 2 shown]
	v_add_nc_u32_e32 v40, 0x682, v46
	v_lshlrev_b64_e32 v[13:14], 2, v[73:74]
	v_mov_b32_e32 v8, v82
	v_mov_b32_e32 v72, v80
	;; [unrolled: 1-line block ×3, first 2 shown]
	v_mad_co_u64_u32 v[77:78], null, s18, v40, 0
	v_add_co_u32 v13, s0, v12, v13
	s_delay_alu instid0(VALU_DEP_4) | instskip(SKIP_2) | instid1(VALU_DEP_2)
	v_lshlrev_b64_e32 v[38:39], 2, v[71:72]
	s_wait_alu 0xf1ff
	v_add_co_ci_u32_e64 v14, s0, v15, v14, s0
	v_add_co_u32 v38, s0, v12, v38
	s_wait_alu 0xf1ff
	s_delay_alu instid0(VALU_DEP_3) | instskip(SKIP_3) | instid1(VALU_DEP_2)
	v_add_co_ci_u32_e64 v39, s0, v15, v39, s0
	s_wait_loadcnt 0x3
	v_mad_co_u64_u32 v[34:35], null, s19, v51, v[8:9]
	v_mov_b32_e32 v8, v19
	v_mov_b32_e32 v82, v34
	s_delay_alu instid0(VALU_DEP_2) | instskip(SKIP_2) | instid1(VALU_DEP_4)
	v_mad_co_u64_u32 v[34:35], null, s19, v22, v[8:9]
	v_add_nc_u32_e32 v22, 0x52b, v46
	v_mov_b32_e32 v8, v65
	v_lshlrev_b64_e32 v[71:72], 2, v[81:82]
	s_delay_alu instid0(VALU_DEP_4) | instskip(NEXT) | instid1(VALU_DEP_4)
	v_mov_b32_e32 v19, v34
	v_mad_co_u64_u32 v[34:35], null, s18, v22, 0
	s_delay_alu instid0(VALU_DEP_4) | instskip(SKIP_1) | instid1(VALU_DEP_4)
	v_mad_co_u64_u32 v[73:74], null, s19, v27, v[8:9]
	v_add_nc_u32_e32 v27, 0x7d9, v46
	v_lshlrev_b64_e32 v[18:19], 2, v[18:19]
	v_add_co_u32 v71, s0, v12, v71
	v_mov_b32_e32 v8, v35
	s_delay_alu instid0(VALU_DEP_4)
	v_mad_co_u64_u32 v[79:80], null, s18, v27, 0
	v_mov_b32_e32 v65, v73
	s_wait_alu 0xf1ff
	v_add_co_ci_u32_e64 v72, s0, v15, v72, s0
	v_mad_co_u64_u32 v[73:74], null, s19, v22, v[8:9]
	v_mov_b32_e32 v8, v78
	v_add_nc_u32_e32 v22, 0x930, v46
	v_add_co_u32 v84, s0, v12, v18
	s_wait_alu 0xf1ff
	v_add_co_ci_u32_e64 v85, s0, v15, v19, s0
	v_mov_b32_e32 v35, v73
	v_mad_co_u64_u32 v[81:82], null, s19, v40, v[8:9]
	v_mad_co_u64_u32 v[82:83], null, s18, v22, 0
	v_mov_b32_e32 v8, v80
	v_lshlrev_b64_e32 v[18:19], 2, v[64:65]
	v_lshrrev_b32_e32 v40, 16, v41
	v_perm_b32 v41, v41, v42, 0x5040100
	v_mov_b32_e32 v78, v81
	v_mad_co_u64_u32 v[64:65], null, s19, v27, v[8:9]
	v_mov_b32_e32 v8, v83
	v_add_co_u32 v73, s0, v12, v18
	s_wait_alu 0xf1ff
	v_add_co_ci_u32_e64 v74, s0, v15, v19, s0
	v_lshlrev_b64_e32 v[18:19], 2, v[34:35]
	v_mad_co_u64_u32 v[34:35], null, s19, v22, v[8:9]
	v_mov_b32_e32 v80, v64
	v_lshlrev_b64_e32 v[77:78], 2, v[77:78]
	v_perm_b32 v42, v6, v42, 0x7060302
	v_add_co_u32 v86, s0, v12, v18
	s_wait_alu 0xf1ff
	v_add_co_ci_u32_e64 v87, s0, v15, v19, s0
	v_mov_b32_e32 v83, v34
	v_lshlrev_b64_e32 v[18:19], 2, v[79:80]
	v_add_co_u32 v34, s0, v12, v77
	s_wait_alu 0xf1ff
	v_add_co_ci_u32_e64 v35, s0, v15, v78, s0
	v_lshlrev_b64_e32 v[64:65], 2, v[82:83]
	s_delay_alu instid0(VALU_DEP_4) | instskip(SKIP_2) | instid1(VALU_DEP_3)
	v_add_co_u32 v77, s0, v12, v18
	s_wait_alu 0xf1ff
	v_add_co_ci_u32_e64 v78, s0, v15, v19, s0
	v_add_co_u32 v79, s0, v12, v64
	s_wait_alu 0xf1ff
	v_add_co_ci_u32_e64 v80, s0, v15, v65, s0
	s_clause 0xd
	global_load_b32 v65, v[13:14], off
	global_load_b32 v19, v[38:39], off
	;; [unrolled: 1-line block ×14, first 2 shown]
	v_lshlrev_b64_e32 v[32:33], 2, v[75:76]
	v_add_co_u32 v35, s0, v12, v25
	s_wait_alu 0xf1ff
	v_add_co_ci_u32_e64 v36, s0, v15, v26, s0
	v_lshrrev_b32_e32 v69, 16, v61
	s_delay_alu instid0(VALU_DEP_4)
	v_add_co_u32 v37, s0, v12, v32
	s_wait_alu 0xf1ff
	v_add_co_ci_u32_e64 v38, s0, v15, v33, s0
	s_clause 0x5
	global_load_b32 v33, v[0:1], off
	global_load_b32 v34, v[2:3], off
	;; [unrolled: 1-line block ×6, first 2 shown]
	v_lshrrev_b32_e32 v37, 16, v89
	v_lshrrev_b32_e32 v32, 16, v91
	;; [unrolled: 1-line block ×3, first 2 shown]
	v_perm_b32 v35, v91, v90, 0x5040100
	v_perm_b32 v38, v89, v88, 0x5040100
	s_wait_loadcnt 0x13
	v_lshrrev_b32_e32 v21, 16, v65
	v_perm_b32 v15, v65, v93, 0x5040100
	s_wait_loadcnt 0x12
	v_perm_b32 v17, v19, v93, 0x7060302
	v_perm_b32 v65, v43, v45, 0x7060302
	s_wait_loadcnt 0xc
	v_lshrrev_b32_e32 v20, 16, v71
	v_perm_b32 v3, v71, v39, 0x5040100
	s_wait_loadcnt 0xb
	v_perm_b32 v12, v18, v39, 0x7060302
	s_wait_loadcnt 0xa
	v_perm_b32 v36, v27, v90, 0x7060302
	v_perm_b32 v39, v7, v88, 0x7060302
	s_wait_loadcnt 0x6
	v_perm_b32 v24, v92, v70, 0x5040100
	v_perm_b32 v26, v11, v70, 0x7060302
	;; [unrolled: 1-line block ×3, first 2 shown]
.LBB0_13:
	s_or_b32 exec_lo, exec_lo, s1
	v_lshrrev_b32_e32 v0, 16, v60
	v_perm_b32 v60, v60, v58, 0x5040100
	v_perm_b32 v78, v52, v58, 0x7060302
	v_add_f16_e32 v71, v43, v52
	v_sub_f16_e32 v72, v52, v43
	v_add_f16_e32 v73, v69, v0
	v_pk_add_f16 v79, v70, v60
	v_pk_add_f16 v80, v65, v78
	v_sub_f16_e32 v74, v0, v69
	v_pk_add_f16 v60, v60, v70 neg_lo:[0,1] neg_hi:[0,1]
	v_pk_add_f16 v65, v78, v65 neg_lo:[0,1] neg_hi:[0,1]
	v_lshrrev_b32_e32 v70, 16, v79
	v_lshrrev_b32_e32 v81, 16, v80
	v_alignbit_b32 v78, v71, v79, 16
	v_lshrrev_b32_e32 v82, 16, v60
	v_pack_b32_f16 v94, v74, v65
	v_add_f16_e32 v70, v71, v70
	v_add_f16_e32 v83, v81, v73
	v_sub_f16_e32 v71, v71, v79
	v_pk_add_f16 v78, v79, v78 neg_lo:[0,1] neg_hi:[0,1]
	v_sub_f16_e32 v86, v73, v81
	v_sub_f16_e32 v81, v81, v80
	;; [unrolled: 1-line block ×3, first 2 shown]
	v_add_f16_e32 v93, v82, v60
	v_add_f16_e32 v95, v74, v65
	;; [unrolled: 1-line block ×3, first 2 shown]
	v_sub_f16_e32 v79, v60, v82
	v_sub_f16_e32 v96, v72, v60
	v_pk_add_f16 v94, v65, v94 neg_lo:[0,1] neg_hi:[0,1]
	v_lshrrev_b32_e32 v60, 16, v65
	v_add_f16_e32 v65, v83, v80
	v_mul_f16_e32 v80, 0xba52, v71
	v_pk_mul_f16 v83, 0x39e02b26, v78
	v_sub_f16_e32 v82, v82, v72
	v_add_f16_e32 v72, v72, v93
	v_sub_f16_e32 v74, v74, v60
	v_add_f16_e32 v93, v60, v95
	v_mul_f16_e32 v60, 0x2b26, v73
	v_mul_f16_e32 v73, 0x3a52, v81
	v_alignbit_b32 v80, v80, v83, 16
	v_fmamk_f16 v71, v71, 0x3a52, v83
	v_pk_mul_f16 v83, 0xb5743846, v94
	v_lshrrev_b32_e32 v75, 16, v44
	v_fma_f16 v95, v86, 0x39e0, -v60
	v_fma_f16 v73, v86, 0xb9e0, -v73
	v_fmamk_f16 v81, v81, 0x3a52, v60
	v_lshrrev_b32_e32 v86, 16, v83
	v_add_f16_e32 v44, v70, v44
	v_add_f16_e32 v60, v65, v75
	v_mul_f16_e32 v75, 0x3846, v79
	v_mul_f16_e32 v74, 0xbb00, v74
	v_add_f16_e32 v79, v86, v83
	v_mul_f16_e32 v83, 0xbb00, v82
	v_pk_fma_f16 v80, 0x39e02b26, v78, v80 neg_lo:[0,1,0] neg_hi:[0,1,0]
	v_fmamk_f16 v70, v70, 0xbcab, v44
	v_fmamk_f16 v65, v65, 0xbcab, v60
	v_fma_f16 v82, v82, 0xbb00, -v75
	v_fmamk_f16 v86, v96, 0xb574, v75
	v_fma_f16 v75, v96, 0x3574, -v83
	v_mul_f16_e32 v83, 0xb70e, v93
	v_pk_fma_f16 v74, 0xb5743846, v94, v74 op_sel_hi:[1,1,0] neg_lo:[0,1,0] neg_hi:[0,1,1]
	v_add_f16_e32 v94, v71, v70
	v_add_f16_e32 v81, v81, v65
	v_add_f16_e32 v95, v95, v65
	v_pk_add_f16 v70, v80, v70 op_sel_hi:[1,0]
	v_add_f16_e32 v65, v73, v65
	v_fmac_f16_e32 v79, 0xb70e, v93
	v_pk_add_f16 v73, v74, v83 op_sel_hi:[1,0]
	v_fmac_f16_e32 v75, 0xb70e, v72
	v_perm_b32 v80, v56, v54, 0x5040100
	v_lshrrev_b32_e32 v61, 16, v56
	v_add_f16_e32 v84, v6, v5
	v_fmac_f16_e32 v86, 0xb70e, v72
	v_fmac_f16_e32 v82, 0xb70e, v72
	v_add_f16_e32 v93, v94, v79
	v_pk_add_f16 v96, v70, v73
	v_sub_f16_e32 v72, v65, v75
	v_pk_add_f16 v56, v70, v73 neg_lo:[0,1] neg_hi:[0,1]
	v_add_f16_e32 v75, v75, v65
	v_pk_add_f16 v65, v41, v80
	v_perm_b32 v70, v5, v54, 0x7060302
	v_sub_f16_e32 v85, v61, v40
	v_sub_f16_e32 v71, v81, v86
	;; [unrolled: 1-line block ×3, first 2 shown]
	v_add_f16_e32 v79, v86, v81
	v_lshrrev_b32_e32 v86, 16, v65
	v_pk_add_f16 v94, v70, v42 neg_lo:[0,1] neg_hi:[0,1]
	v_pack_b32_f16 v81, v44, v93
	v_alignbit_b32 v44, v84, v65, 16
	v_add_f16_e32 v73, v82, v95
	v_sub_f16_e32 v74, v95, v82
	v_bfi_b32 v83, 0xffff, v96, v56
	v_alignbit_b32 v82, v56, v96, 16
	v_add_f16_e32 v56, v84, v86
	v_pack_b32_f16 v86, v85, v94
	v_sub_f16_e32 v84, v84, v65
	v_lshrrev_b32_e32 v93, 16, v94
	v_pk_add_f16 v44, v65, v44 neg_lo:[0,1] neg_hi:[0,1]
	v_add_f16_e32 v95, v85, v94
	v_pk_add_f16 v86, v94, v86 neg_lo:[0,1] neg_hi:[0,1]
	v_add_f16_e32 v56, v56, v65
	v_mul_f16_e32 v65, 0xba52, v84
	v_pk_mul_f16 v94, 0x39e02b26, v44
	v_sub_f16_e32 v85, v85, v93
	v_add_f16_e32 v93, v93, v95
	v_add_f16_e32 v95, v56, v4
	v_pk_mul_f16 v96, 0xb5743846, v86
	v_alignbit_b32 v65, v65, v94, 16
	v_mul_f16_e32 v85, 0xbb00, v85
	v_mad_u32_u24 v78, v46, 14, 0
	v_mul_f16_e32 v97, 0xb70e, v93
	v_fmamk_f16 v56, v56, 0xbcab, v95
	v_lshrrev_b32_e32 v98, 16, v96
	v_pk_fma_f16 v44, 0x39e02b26, v44, v65 neg_lo:[0,1,0] neg_hi:[0,1,0]
	v_pk_fma_f16 v65, 0xb5743846, v86, v85 op_sel_hi:[1,1,0] neg_lo:[0,1,0] neg_hi:[0,1,1]
	s_load_b64 s[0:1], s[2:3], 0x0
	ds_store_b96 v78, v[81:83]
	ds_store_b16 v78, v54 offset:12
	v_fmamk_f16 v54, v84, 0x3a52, v94
	v_add_f16_e32 v83, v98, v96
	v_pk_add_f16 v44, v44, v56 op_sel_hi:[1,0]
	v_pk_add_f16 v82, v65, v97 op_sel_hi:[1,0]
	v_lshrrev_b32_e32 v45, 16, v63
	v_perm_b32 v81, v63, v59, 0x5040100
	v_add_f16_e32 v54, v54, v56
	v_fmac_f16_e32 v83, 0xb70e, v93
	v_pk_add_f16 v56, v44, v82
	v_pk_add_f16 v44, v44, v82 neg_lo:[0,1] neg_hi:[0,1]
	s_wait_loadcnt 0x4
	v_perm_b32 v82, v34, v59, 0x7060302
	v_add_f16_e32 v87, v7, v34
	v_sub_f16_e32 v90, v45, v37
	v_pk_add_f16 v63, v38, v81
	v_add_f16_e32 v59, v54, v83
	v_pk_add_f16 v93, v82, v39 neg_lo:[0,1] neg_hi:[0,1]
	v_sub_f16_e32 v54, v54, v83
	v_bfi_b32 v86, 0xffff, v56, v44
	v_lshrrev_b32_e32 v83, 16, v63
	v_alignbit_b32 v85, v44, v56, 16
	v_alignbit_b32 v44, v87, v63, 16
	v_pack_b32_f16 v84, v95, v59
	v_pack_b32_f16 v59, v90, v93
	v_add_f16_e32 v56, v87, v83
	v_sub_f16_e32 v83, v87, v63
	v_pk_add_f16 v44, v63, v44 neg_lo:[0,1] neg_hi:[0,1]
	v_lshrrev_b32_e32 v94, 16, v93
	v_pk_add_f16 v59, v93, v59 neg_lo:[0,1] neg_hi:[0,1]
	v_add_f16_e32 v87, v90, v93
	v_add_f16_e32 v56, v56, v63
	v_mul_f16_e32 v63, 0xba52, v83
	v_pk_mul_f16 v93, 0x39e02b26, v44
	v_sub_f16_e32 v90, v90, v94
	v_pk_mul_f16 v95, 0xb5743846, v59
	v_add_f16_e32 v87, v94, v87
	v_add_f16_e32 v94, v56, v33
	v_alignbit_b32 v63, v63, v93, 16
	v_fmamk_f16 v93, v83, 0x3a52, v93
	v_lshrrev_b32_e32 v83, 16, v95
	v_mul_f16_e32 v90, 0xbb00, v90
	v_mad_i32_i24 v65, v47, 14, 0
	v_fmamk_f16 v56, v56, 0xbcab, v94
	v_pk_fma_f16 v44, 0x39e02b26, v44, v63 neg_lo:[0,1,0] neg_hi:[0,1,0]
	v_mul_f16_e32 v63, 0xb70e, v87
	v_add_f16_e32 v95, v83, v95
	v_pk_fma_f16 v59, 0xb5743846, v59, v90 op_sel_hi:[1,1,0] neg_lo:[0,1,0] neg_hi:[0,1,1]
	s_wait_loadcnt 0x1
	v_perm_b32 v83, v77, v55, 0x5040100
	v_lshrrev_b32_e32 v43, 16, v77
	v_add_f16_e32 v91, v27, v25
	v_add_f16_e32 v77, v93, v56
	v_pk_add_f16 v44, v44, v56 op_sel_hi:[1,0]
	v_pk_add_f16 v56, v59, v63 op_sel_hi:[1,0]
	v_pk_add_f16 v59, v35, v83
	ds_store_b96 v65, v[84:86]
	ds_store_b16 v65, v54 offset:12
	v_perm_b32 v84, v25, v55, 0x7060302
	v_sub_f16_e32 v92, v43, v32
	v_pk_add_f16 v55, v44, v56
	v_pk_add_f16 v44, v44, v56 neg_lo:[0,1] neg_hi:[0,1]
	v_alignbit_b32 v56, v91, v59, 16
	v_pk_add_f16 v85, v84, v36 neg_lo:[0,1] neg_hi:[0,1]
	v_fmac_f16_e32 v95, 0xb70e, v87
	v_lshrrev_b32_e32 v63, 16, v59
	v_sub_f16_e32 v86, v91, v59
	v_pk_add_f16 v56, v59, v56 neg_lo:[0,1] neg_hi:[0,1]
	v_pack_b32_f16 v87, v92, v85
	v_add_f16_e32 v54, v77, v95
	v_sub_f16_e32 v77, v77, v95
	v_add_f16_e32 v63, v91, v63
	v_lshrrev_b32_e32 v90, 16, v85
	v_add_f16_e32 v91, v92, v85
	v_mul_f16_e32 v93, 0xba52, v86
	v_pk_mul_f16 v95, 0x39e02b26, v56
	v_pk_add_f16 v85, v85, v87 neg_lo:[0,1] neg_hi:[0,1]
	v_sub_f16_e32 v87, v92, v90
	v_add_f16_e32 v59, v63, v59
	v_add_f16_e32 v63, v90, v91
	v_alignbit_b32 v90, v93, v95, 16
	v_pk_mul_f16 v91, 0xb5743846, v85
	v_mul_f16_e32 v87, 0xbb00, v87
	v_add_f16_e32 v92, v59, v22
	v_mul_f16_e32 v93, 0xb70e, v63
	v_pk_fma_f16 v90, 0x39e02b26, v56, v90 neg_lo:[0,1,0] neg_hi:[0,1,0]
	v_lshrrev_b32_e32 v56, 16, v91
	v_pk_fma_f16 v87, 0xb5743846, v85, v87 op_sel_hi:[1,1,0] neg_lo:[0,1,0] neg_hi:[0,1,1]
	v_fmamk_f16 v59, v59, 0xbcab, v92
	v_fmamk_f16 v86, v86, 0x3a52, v95
	v_mad_i32_i24 v85, v48, 14, 0
	v_add_f16_e32 v91, v56, v91
	v_pk_add_f16 v87, v87, v93 op_sel_hi:[1,0]
	v_bfi_b32 v56, 0xffff, v55, v44
	v_pk_add_f16 v90, v90, v59 op_sel_hi:[1,0]
	v_alignbit_b32 v55, v44, v55, 16
	v_pack_b32_f16 v54, v94, v54
	v_add_f16_e32 v59, v86, v59
	v_fmac_f16_e32 v91, 0xb70e, v63
	v_perm_b32 v86, v68, v66, 0x5040100
	v_lshrrev_b32_e32 v1, 16, v68
	v_add_f16_e32 v88, v11, v16
	v_pk_add_f16 v63, v90, v87
	v_pk_add_f16 v90, v90, v87 neg_lo:[0,1] neg_hi:[0,1]
	ds_store_b96 v85, v[54:56]
	ds_store_b16 v85, v77 offset:12
	v_add_f16_e32 v54, v59, v91
	v_pk_add_f16 v68, v24, v86
	v_perm_b32 v87, v16, v66, 0x7060302
	v_sub_f16_e32 v89, v1, v23
	v_mad_i32_i24 v44, v49, 14, 0
	v_bfi_b32 v56, 0xffff, v63, v90
	v_alignbit_b32 v55, v90, v63, 16
	v_pack_b32_f16 v54, v92, v54
	v_lshrrev_b32_e32 v63, 16, v68
	v_pk_add_f16 v66, v87, v26 neg_lo:[0,1] neg_hi:[0,1]
	v_alignbit_b32 v77, v88, v68, 16
	v_sub_f16_e32 v59, v59, v91
	ds_store_b96 v44, v[54:56]
	ds_store_b16 v44, v59 offset:12
	v_add_f16_e32 v54, v88, v63
	v_pack_b32_f16 v55, v89, v66
	v_sub_f16_e32 v56, v88, v68
	v_pk_add_f16 v59, v68, v77 neg_lo:[0,1] neg_hi:[0,1]
	v_lshrrev_b32_e32 v77, 16, v66
	v_add_f16_e32 v63, v89, v66
	v_pk_add_f16 v55, v66, v55 neg_lo:[0,1] neg_hi:[0,1]
	v_add_f16_e32 v54, v54, v68
	v_mul_f16_e32 v66, 0xba52, v56
	v_pk_mul_f16 v68, 0x39e02b26, v59
	v_sub_f16_e32 v88, v89, v77
	v_add_f16_e32 v63, v77, v63
	v_pk_mul_f16 v77, 0xb5743846, v55
	v_add_f16_e32 v90, v54, v13
	v_alignbit_b32 v66, v66, v68, 16
	v_mul_f16_e32 v88, 0xbb00, v88
	v_mul_f16_e32 v89, 0xb70e, v63
	v_lshrrev_b32_e32 v91, 16, v77
	v_fmamk_f16 v54, v54, 0xbcab, v90
	v_pk_fma_f16 v59, 0x39e02b26, v59, v66 neg_lo:[0,1,0] neg_hi:[0,1,0]
	v_pk_fma_f16 v55, 0xb5743846, v55, v88 op_sel_hi:[1,1,0] neg_lo:[0,1,0] neg_hi:[0,1,1]
	v_lshrrev_b32_e32 v0, 16, v57
	v_fmamk_f16 v56, v56, 0x3a52, v68
	v_add_f16_e32 v66, v91, v77
	s_wait_loadcnt 0x0
	v_perm_b32 v88, v57, v67, 0x5040100
	v_pk_add_f16 v57, v59, v54 op_sel_hi:[1,0]
	v_pk_add_f16 v55, v55, v89 op_sel_hi:[1,0]
	v_perm_b32 v89, v10, v67, 0x7060302
	v_add_f16_e32 v76, v19, v10
	v_sub_f16_e32 v69, v0, v21
	v_add_f16_e32 v54, v56, v54
	v_fmac_f16_e32 v66, 0xb70e, v63
	v_pk_add_f16 v59, v15, v88
	v_pk_add_f16 v56, v57, v55
	v_pk_add_f16 v55, v57, v55 neg_lo:[0,1] neg_hi:[0,1]
	v_pk_add_f16 v68, v89, v17 neg_lo:[0,1] neg_hi:[0,1]
	v_add_f16_e32 v63, v54, v66
	v_lshrrev_b32_e32 v67, 16, v59
	v_sub_f16_e32 v77, v54, v66
	v_bfi_b32 v57, 0xffff, v56, v55
	v_alignbit_b32 v56, v55, v56, 16
	v_pack_b32_f16 v55, v69, v68
	v_alignbit_b32 v66, v76, v59, 16
	v_add_f16_e32 v54, v76, v67
	v_add_f16_e32 v67, v69, v68
	v_lshrrev_b32_e32 v91, 16, v68
	v_sub_f16_e32 v76, v76, v59
	v_pk_add_f16 v55, v68, v55 neg_lo:[0,1] neg_hi:[0,1]
	v_pk_add_f16 v66, v59, v66 neg_lo:[0,1] neg_hi:[0,1]
	v_add_f16_e32 v54, v54, v59
	v_add_f16_e32 v59, v91, v67
	v_mul_f16_e32 v67, 0xba52, v76
	v_pk_mul_f16 v68, 0xb5743846, v55
	v_pk_mul_f16 v92, 0x39e02b26, v66
	v_sub_f16_e32 v69, v69, v91
	v_add_f16_e32 v91, v54, v9
	v_lshrrev_b32_e32 v2, 16, v64
	v_lshrrev_b32_e32 v94, 16, v68
	v_alignbit_b32 v67, v67, v92, 16
	v_mul_f16_e32 v69, 0xbb00, v69
	v_mul_f16_e32 v93, 0xb70e, v59
	v_fmamk_f16 v54, v54, 0xbcab, v91
	v_fmamk_f16 v76, v76, 0x3a52, v92
	v_add_f16_e32 v68, v94, v68
	v_pk_fma_f16 v66, 0x39e02b26, v66, v67 neg_lo:[0,1,0] neg_hi:[0,1,0]
	v_pk_fma_f16 v55, 0xb5743846, v55, v69 op_sel_hi:[1,1,0] neg_lo:[0,1,0] neg_hi:[0,1,1]
	v_perm_b32 v64, v64, v62, 0x5040100
	v_add_f16_e32 v58, v18, v14
	v_add_f16_e32 v67, v76, v54
	v_fmac_f16_e32 v68, 0xb70e, v59
	v_pk_add_f16 v54, v66, v54 op_sel_hi:[1,0]
	v_pk_add_f16 v59, v55, v93 op_sel_hi:[1,0]
	v_pk_add_f16 v66, v3, v64
	v_pack_b32_f16 v55, v90, v63
	v_perm_b32 v90, v14, v62, 0x7060302
	v_sub_f16_e32 v52, v2, v20
	v_pk_add_f16 v76, v54, v59
	v_lshrrev_b32_e32 v62, 16, v66
	v_pk_add_f16 v54, v54, v59 neg_lo:[0,1] neg_hi:[0,1]
	v_alignbit_b32 v59, v58, v66, 16
	v_pk_add_f16 v63, v90, v12 neg_lo:[0,1] neg_hi:[0,1]
	v_add_f16_e32 v69, v67, v68
	v_sub_f16_e32 v94, v67, v68
	v_add_f16_e32 v62, v58, v62
	v_sub_f16_e32 v58, v58, v66
	v_pk_add_f16 v59, v66, v59 neg_lo:[0,1] neg_hi:[0,1]
	v_pack_b32_f16 v68, v52, v63
	v_add_f16_e32 v67, v52, v63
	v_lshrrev_b32_e32 v92, 16, v63
	v_add_f16_e32 v62, v62, v66
	v_pk_mul_f16 v66, 0x39e02b26, v59
	v_mul_f16_e32 v93, 0xba52, v58
	v_pk_add_f16 v68, v63, v68 neg_lo:[0,1] neg_hi:[0,1]
	v_sub_f16_e32 v52, v52, v92
	v_add_f16_e32 v67, v92, v67
	v_add_f16_e32 v95, v62, v8
	v_alignbit_b32 v92, v93, v66, 16
	v_pk_mul_f16 v93, 0xb5743846, v68
	v_mul_f16_e32 v52, 0xbb00, v52
	v_fmamk_f16 v58, v58, 0x3a52, v66
	v_fmamk_f16 v96, v62, 0xbcab, v95
	v_pk_fma_f16 v59, 0x39e02b26, v59, v92 neg_lo:[0,1,0] neg_hi:[0,1,0]
	v_lshrrev_b32_e32 v92, 16, v93
	v_pk_fma_f16 v52, 0xb5743846, v68, v52 op_sel_hi:[1,1,0] neg_lo:[0,1,0] neg_hi:[0,1,1]
	v_mul_f16_e32 v68, 0xb70e, v67
	v_pk_add_f16 v42, v42, v70
	v_pk_add_f16 v59, v59, v96 op_sel_hi:[1,0]
	v_add_f16_e32 v92, v92, v93
	v_add_f16_e32 v58, v58, v96
	v_pk_add_f16 v52, v52, v68 op_sel_hi:[1,0]
	v_add_f16_e32 v40, v40, v61
	v_lshrrev_b32_e32 v61, 16, v42
	v_fmac_f16_e32 v92, 0xb70e, v67
	v_pk_add_f16 v41, v80, v41 neg_lo:[0,1] neg_hi:[0,1]
	v_bfi_b32 v68, 0xffff, v76, v54
	v_alignbit_b32 v67, v54, v76, 16
	v_pk_add_f16 v76, v59, v52
	v_pk_add_f16 v52, v59, v52 neg_lo:[0,1] neg_hi:[0,1]
	v_add_f16_e32 v59, v58, v92
	v_mad_i32_i24 v63, v50, 14, 0
	v_sub_f16_e32 v5, v5, v6
	v_add_f16_e32 v6, v61, v40
	v_lshrrev_b32_e32 v80, 16, v41
	v_mad_i32_i24 v62, v53, 14, 0
	v_pack_b32_f16 v66, v91, v69
	v_mad_i32_i24 v54, v51, 14, 0
	v_sub_f16_e32 v58, v58, v92
	v_bfi_b32 v93, 0xffff, v76, v52
	v_alignbit_b32 v92, v52, v76, 16
	v_pack_b32_f16 v91, v95, v59
	ds_store_b96 v63, v[55:57]
	ds_store_b16 v63, v77 offset:12
	ds_store_b96 v62, v[66:68]
	ds_store_b16 v62, v94 offset:12
	ds_store_b96 v54, v[91:93]
	ds_store_b16 v54, v58 offset:12
	v_sub_f16_e32 v91, v40, v61
	v_sub_f16_e32 v61, v61, v42
	;; [unrolled: 1-line block ×3, first 2 shown]
	v_add_f16_e32 v6, v6, v42
	v_add_f16_e32 v42, v80, v41
	v_lshrrev_b32_e32 v4, 16, v4
	v_sub_f16_e64 v132, v41, v80
	v_sub_f16_e32 v80, v80, v5
	v_sub_f16_e32 v41, v5, v41
	v_add_f16_e32 v5, v5, v42
	v_add_f16_e32 v4, v6, v4
	v_mul_f16_e32 v42, 0x3a52, v61
	v_mul_f16_e32 v40, 0x2b26, v40
	v_pk_add_f16 v39, v39, v82
	v_add_f16_e32 v37, v37, v45
	v_fmamk_f16 v6, v6, 0xbcab, v4
	v_fma_f16 v42, v91, 0xb9e0, -v42
	v_fma_f16 v91, v91, 0x39e0, -v40
	v_fmamk_f16 v40, v61, 0x3a52, v40
	v_lshrrev_b32_e32 v45, 16, v39
	v_pk_add_f16 v38, v81, v38 neg_lo:[0,1] neg_hi:[0,1]
	v_add_f16_e32 v42, v42, v6
	v_add_f16_e32 v91, v91, v6
	;; [unrolled: 1-line block ×3, first 2 shown]
	v_sub_f16_e32 v6, v34, v7
	v_add_f16_e32 v7, v45, v37
	v_lshrrev_b32_e32 v34, 16, v38
	v_mul_f16_e64 v133, 0xbb00, v80
	v_mul_f16_e64 v132, 0x3846, v132
	v_sub_f16_e32 v61, v37, v45
	v_sub_f16_e32 v45, v45, v39
	;; [unrolled: 1-line block ×3, first 2 shown]
	v_add_f16_e32 v7, v7, v39
	v_add_f16_e32 v39, v34, v38
	v_lshrrev_b32_e32 v33, 16, v33
	v_sub_f16_e32 v81, v38, v34
	v_sub_f16_e32 v34, v34, v6
	v_fma_f16 v133, v41, 0x3574, -v133
	v_fma_f16 v80, v80, 0xbb00, -v132
	v_fma_f16 v41, 0xb574, v41, v132
	v_sub_f16_e32 v38, v6, v38
	v_add_f16_e32 v39, v6, v39
	v_add_f16_e32 v82, v7, v33
	v_mul_f16_e32 v6, 0x3a52, v45
	v_mul_f16_e32 v33, 0xbb00, v34
	v_mul_f16_e32 v37, 0x2b26, v37
	v_mul_f16_e32 v81, 0x3846, v81
	v_lshl_add_u32 v52, v46, 1, 0
	v_lshl_add_u32 v56, v48, 1, 0
	v_pack_b32_f16 v131, v74, v75
	v_pack_b32_f16 v130, v72, v73
	;; [unrolled: 1-line block ×3, first 2 shown]
	v_fmac_f16_e64 v133, 0xb70e, v5
	v_fmac_f16_e32 v80, 0xb70e, v5
	v_fmamk_f16 v7, v7, 0xbcab, v82
	v_fma_f16 v6, v61, 0xb9e0, -v6
	v_fma_f16 v33, v38, 0x3574, -v33
	;; [unrolled: 1-line block ×4, first 2 shown]
	v_fmac_f16_e32 v41, 0xb70e, v5
	v_pk_add_f16 v36, v36, v84
	v_lshl_add_u32 v55, v47, 1, 0
	v_lshl_add_u32 v57, v49, 1, 0
	;; [unrolled: 1-line block ×4, first 2 shown]
	global_wb scope:SCOPE_SE
	s_wait_dscnt 0x0
	s_wait_kmcnt 0x0
	s_barrier_signal -1
	s_barrier_wait -1
	global_inv scope:SCOPE_SE
	ds_load_u16 v92, v52 offset:3626
	ds_load_u16 v94, v52 offset:4312
	;; [unrolled: 1-line block ×3, first 2 shown]
	ds_load_u16 v69, v57
	ds_load_u16 v68, v58
	;; [unrolled: 1-line block ×3, first 2 shown]
	ds_load_u16 v124, v52 offset:1372
	ds_load_u16 v121, v52 offset:1470
	;; [unrolled: 1-line block ×15, first 2 shown]
	v_mad_i32_i24 v60, v51, -12, v54
	ds_load_u16 v96, v52 offset:3724
	ds_load_u16 v95, v52 offset:3822
	;; [unrolled: 1-line block ×5, first 2 shown]
	ds_load_u16 v67, v60
	ds_load_u16 v72, v52
	ds_load_u16 v128, v52 offset:686
	ds_load_u16 v125, v52 offset:784
	;; [unrolled: 1-line block ×18, first 2 shown]
	ds_load_u16 v70, v56
	ds_load_u16 v71, v55
	ds_load_u16 v77, v52 offset:4704
	global_wb scope:SCOPE_SE
	s_wait_dscnt 0x0
	s_barrier_signal -1
	s_barrier_wait -1
	global_inv scope:SCOPE_SE
	ds_store_b96 v78, v[129:131]
	ds_store_b16 v78, v79 offset:12
	v_sub_f16_e64 v78, v42, v133
	v_add_f16_e64 v42, v133, v42
	v_sub_f16_e32 v79, v91, v80
	v_add_f16_e32 v80, v80, v91
	v_add_f16_e32 v91, v6, v7
	v_fmac_f16_e32 v33, 0xb70e, v39
	v_add_f16_e32 v61, v61, v7
	v_fmac_f16_e32 v34, 0xb70e, v39
	v_sub_f16_e64 v129, v40, v41
	v_add_f16_e32 v40, v41, v40
	v_fmamk_f16 v37, v45, 0x3a52, v37
	v_add_f16_e32 v32, v32, v43
	v_lshrrev_b32_e32 v41, 16, v36
	v_pk_add_f16 v35, v83, v35 neg_lo:[0,1] neg_hi:[0,1]
	v_pack_b32_f16 v6, v79, v42
	v_pack_b32_f16 v5, v78, v80
	v_add_f16_e32 v42, v33, v91
	v_sub_f16_e32 v78, v61, v34
	v_fmamk_f16 v38, v38, 0xb574, v81
	v_add_f16_e32 v7, v37, v7
	v_sub_f16_e32 v25, v25, v27
	v_add_f16_e32 v27, v41, v32
	v_lshrrev_b32_e32 v37, 16, v35
	v_add_f16_e32 v61, v34, v61
	v_pack_b32_f16 v34, v78, v42
	v_fmac_f16_e32 v38, 0xb70e, v39
	v_sub_f16_e32 v39, v32, v41
	v_sub_f16_e32 v41, v41, v36
	;; [unrolled: 1-line block ×3, first 2 shown]
	v_add_f16_e32 v27, v27, v36
	v_add_f16_e32 v36, v37, v35
	v_lshrrev_b32_e32 v22, 16, v22
	v_sub_f16_e32 v42, v35, v37
	v_sub_f16_e32 v37, v37, v25
	;; [unrolled: 1-line block ×3, first 2 shown]
	v_add_f16_e32 v25, v25, v36
	v_add_f16_e32 v22, v27, v22
	v_mul_f16_e32 v36, 0x3a52, v41
	v_mul_f16_e32 v43, 0xbb00, v37
	v_sub_f16_e32 v33, v91, v33
	v_mul_f16_e32 v45, 0x2b26, v32
	v_fmamk_f16 v27, v27, 0xbcab, v22
	v_fma_f16 v32, v39, 0xb9e0, -v36
	v_fma_f16 v36, v35, 0x3574, -v43
	v_sub_f16_e32 v43, v7, v38
	v_pack_b32_f16 v4, v4, v129
	v_mul_f16_e32 v42, 0x3846, v42
	v_pack_b32_f16 v33, v33, v61
	v_add_f16_e32 v61, v32, v27
	v_pack_b32_f16 v32, v82, v43
	v_add_f16_e32 v7, v38, v7
	ds_store_b96 v65, v[4:6]
	ds_store_b16 v65, v40 offset:12
	ds_store_b96 v85, v[32:34]
	ds_store_b16 v85, v7 offset:12
	v_fmamk_f16 v6, v41, 0x3a52, v45
	v_fmamk_f16 v7, v35, 0xb574, v42
	v_sub_f16_e32 v11, v16, v11
	v_pk_add_f16 v16, v26, v87
	v_add_f16_e32 v1, v23, v1
	v_sub_f16_e32 v10, v10, v19
	v_add_f16_e32 v6, v6, v27
	v_fmac_f16_e32 v7, 0xb70e, v25
	v_sub_f16_e32 v14, v14, v18
	v_lshrrev_b32_e32 v18, 16, v16
	v_pk_add_f16 v19, v86, v24 neg_lo:[0,1] neg_hi:[0,1]
	v_add_f16_e32 v0, v21, v0
	v_add_f16_e32 v2, v20, v2
	v_sub_f16_e32 v20, v6, v7
	v_add_f16_e32 v6, v7, v6
	v_add_f16_e32 v7, v18, v1
	v_lshrrev_b32_e32 v21, 16, v19
	v_sub_f16_e32 v23, v1, v18
	v_sub_f16_e32 v18, v18, v16
	;; [unrolled: 1-line block ×3, first 2 shown]
	v_add_f16_e32 v7, v7, v16
	v_add_f16_e32 v16, v21, v19
	v_sub_f16_e32 v24, v19, v21
	v_lshrrev_b32_e32 v13, 16, v13
	v_fma_f16 v37, v37, 0xbb00, -v42
	v_sub_f16_e32 v19, v11, v19
	v_mul_f16_e32 v1, 0x2b26, v1
	v_sub_f16_e32 v21, v21, v11
	v_add_f16_e32 v11, v11, v16
	v_mul_f16_e32 v16, 0x3a52, v18
	v_add_f16_e32 v13, v7, v13
	v_mul_f16_e32 v24, 0x3846, v24
	v_fmac_f16_e32 v36, 0xb70e, v25
	v_fmac_f16_e32 v37, 0xb70e, v25
	v_fmamk_f16 v18, v18, 0x3a52, v1
	v_fma_f16 v1, v23, 0x39e0, -v1
	v_mul_f16_e32 v25, 0xbb00, v21
	v_fmamk_f16 v7, v7, 0xbcab, v13
	v_fma_f16 v16, v23, 0xb9e0, -v16
	v_fma_f16 v21, v21, 0xbb00, -v24
	v_fmamk_f16 v23, v19, 0xb574, v24
	v_fma_f16 v19, v19, 0x3574, -v25
	v_add_f16_e32 v18, v18, v7
	v_add_f16_e32 v1, v1, v7
	v_fmac_f16_e32 v21, 0xb70e, v11
	v_add_f16_e32 v7, v16, v7
	v_pk_add_f16 v16, v17, v89
	v_fmac_f16_e32 v19, 0xb70e, v11
	v_fmac_f16_e32 v23, 0xb70e, v11
	v_add_f16_e32 v11, v21, v1
	v_sub_f16_e32 v1, v1, v21
	v_lshrrev_b32_e32 v21, 16, v16
	v_pk_add_f16 v15, v88, v15 neg_lo:[0,1] neg_hi:[0,1]
	v_sub_f16_e32 v17, v7, v19
	v_add_f16_e32 v7, v19, v7
	v_sub_f16_e32 v19, v18, v23
	v_add_f16_e32 v18, v23, v18
	v_add_f16_e32 v23, v21, v0
	v_lshrrev_b32_e32 v24, 16, v15
	v_sub_f16_e32 v25, v0, v21
	v_sub_f16_e32 v21, v21, v16
	;; [unrolled: 1-line block ×3, first 2 shown]
	v_add_f16_e32 v16, v23, v16
	v_sub_f16_e32 v26, v15, v24
	v_lshrrev_b32_e32 v9, 16, v9
	v_fma_f16 v39, v39, 0x39e0, -v45
	v_add_f16_e32 v23, v24, v15
	v_sub_f16_e32 v24, v24, v10
	v_mul_f16_e32 v0, 0x2b26, v0
	v_add_f16_e32 v9, v16, v9
	v_mul_f16_e32 v26, 0x3846, v26
	v_add_f16_e32 v39, v39, v27
	v_sub_f16_e32 v15, v10, v15
	v_add_f16_e32 v10, v10, v23
	v_mul_f16_e32 v23, 0x3a52, v21
	v_fmamk_f16 v21, v21, 0x3a52, v0
	v_fma_f16 v0, v25, 0x39e0, -v0
	v_mul_f16_e32 v27, 0xbb00, v24
	v_fmamk_f16 v16, v16, 0xbcab, v9
	v_fma_f16 v24, v24, 0xbb00, -v26
	v_fma_f16 v23, v25, 0xb9e0, -v23
	v_fmamk_f16 v25, v15, 0xb574, v26
	v_fma_f16 v15, v15, 0x3574, -v27
	v_add_f16_e32 v0, v0, v16
	v_fmac_f16_e32 v24, 0xb70e, v10
	v_add_f16_e32 v21, v21, v16
	v_add_f16_e32 v16, v23, v16
	v_fmac_f16_e32 v15, 0xb70e, v10
	v_fmac_f16_e32 v25, 0xb70e, v10
	v_add_f16_e32 v10, v24, v0
	v_pk_add_f16 v12, v12, v90
	v_sub_f16_e32 v23, v0, v24
	v_pk_add_f16 v0, v64, v3 neg_lo:[0,1] neg_hi:[0,1]
	v_and_b32_e32 v27, 0xff, v46
	v_sub_f16_e32 v24, v16, v15
	v_add_f16_e32 v15, v15, v16
	v_lshrrev_b32_e32 v16, 16, v12
	v_pack_b32_f16 v3, v22, v20
	v_lshrrev_b32_e32 v22, 16, v0
	v_mul_lo_u16 v27, v27, 37
	v_sub_f16_e32 v20, v21, v25
	v_add_f16_e32 v21, v25, v21
	v_add_f16_e32 v25, v16, v2
	v_sub_f16_e32 v26, v2, v16
	v_sub_f16_e32 v16, v16, v12
	;; [unrolled: 1-line block ×3, first 2 shown]
	v_add_f16_e32 v32, v22, v0
	v_lshrrev_b16 v27, 8, v27
	v_add_f16_e32 v12, v25, v12
	v_sub_f16_e32 v25, v0, v22
	v_sub_f16_e32 v0, v14, v0
	;; [unrolled: 1-line block ×3, first 2 shown]
	v_mul_f16_e32 v2, 0x2b26, v2
	v_add_f16_e32 v14, v14, v32
	v_lshrrev_b32_e32 v8, 16, v8
	v_mul_f16_e32 v32, 0x3a52, v16
	v_sub_nc_u16 v33, v46, v27
	v_mul_f16_e32 v25, 0x3846, v25
	v_fmamk_f16 v16, v16, 0x3a52, v2
	v_add_f16_e32 v34, v12, v8
	v_fma_f16 v2, v26, 0x39e0, -v2
	v_fma_f16 v8, v26, 0xb9e0, -v32
	v_mul_f16_e32 v26, 0xbb00, v22
	v_lshrrev_b16 v32, 1, v33
	v_fmamk_f16 v12, v12, 0xbcab, v34
	v_fma_f16 v22, v22, 0xbb00, -v25
	v_fmamk_f16 v25, v0, 0xb574, v25
	v_fma_f16 v0, v0, 0x3574, -v26
	v_and_b32_e32 v26, 0x7f, v32
	v_sub_f16_e32 v38, v61, v36
	v_add_f16_e32 v36, v36, v61
	v_sub_f16_e32 v43, v39, v37
	v_add_f16_e32 v37, v37, v39
	v_add_nc_u16 v26, v26, v27
	v_add_f16_e32 v8, v8, v12
	v_fmac_f16_e32 v0, 0xb70e, v14
	v_pack_b32_f16 v5, v43, v36
	v_pack_b32_f16 v4, v38, v37
	v_lshrrev_b16 v78, 2, v26
	v_add_f16_e32 v2, v2, v12
	v_sub_f16_e32 v26, v8, v0
	v_add_f16_e32 v8, v0, v8
	v_and_b32_e32 v0, 0xff, v47
	v_fmac_f16_e32 v22, 0xb70e, v14
	ds_store_b96 v44, v[3:5]
	ds_store_b16 v44, v6 offset:12
	v_fmac_f16_e32 v25, 0xb70e, v14
	v_and_b32_e32 v61, 0xff, v48
	v_mul_lo_u16 v3, v0, 37
	v_add_f16_e32 v14, v22, v2
	v_sub_f16_e32 v22, v2, v22
	v_pack_b32_f16 v2, v1, v7
	v_pack_b32_f16 v1, v17, v11
	;; [unrolled: 1-line block ×3, first 2 shown]
	v_lshrrev_b16 v11, 8, v3
	v_pack_b32_f16 v5, v23, v15
	v_pack_b32_f16 v4, v24, v10
	;; [unrolled: 1-line block ×3, first 2 shown]
	ds_store_b96 v63, v[0:2]
	ds_store_b16 v63, v18 offset:12
	v_sub_nc_u16 v9, v47, v11
	v_mul_lo_u16 v2, v61, 37
	v_add_f16_e32 v16, v16, v12
	ds_store_b96 v62, v[3:5]
	ds_store_b16 v62, v21 offset:12
	v_pack_b32_f16 v8, v22, v8
	v_lshrrev_b16 v0, 1, v9
	v_lshrrev_b16 v4, 8, v2
	v_sub_f16_e32 v12, v16, v25
	v_add_f16_e32 v16, v25, v16
	v_mul_lo_u16 v25, v78, 7
	v_and_b32_e32 v0, 0x7f, v0
	v_sub_nc_u16 v5, v48, v4
	v_pack_b32_f16 v7, v26, v14
	v_and_b32_e32 v62, 0xff, v49
	v_sub_nc_u16 v6, v46, v25
	v_add_nc_u16 v0, v0, v11
	v_lshrrev_b16 v5, 1, v5
	v_and_b32_e32 v63, 0xff, v50
	v_and_b32_e32 v64, 0xffff, v53
	;; [unrolled: 1-line block ×3, first 2 shown]
	v_pack_b32_f16 v6, v34, v12
	v_lshrrev_b16 v81, 2, v0
	v_and_b32_e32 v5, 0x7f, v5
	ds_store_b96 v54, v[6:8]
	ds_store_b16 v54, v16 offset:12
	v_mul_lo_u16 v6, v81, 7
	v_add_nc_u16 v4, v5, v4
	v_mul_u32_u24_e32 v1, 6, v79
	global_wb scope:SCOPE_SE
	s_wait_dscnt 0x0
	s_barrier_signal -1
	v_sub_nc_u16 v6, v47, v6
	v_lshrrev_b16 v82, 2, v4
	v_lshlrev_b32_e32 v32, 2, v1
	s_barrier_wait -1
	global_inv scope:SCOPE_SE
	v_and_b32_e32 v80, 0xff, v6
	v_mul_lo_u16 v6, v62, 37
	v_mul_lo_u16 v9, v82, 7
	global_load_b128 v[0:3], v32, s[8:9]
	v_and_b32_e32 v65, 0xffff, v51
	v_mul_u32_u24_e32 v5, 6, v80
	v_lshrrev_b16 v8, 8, v6
	v_sub_nc_u16 v9, v48, v9
	v_and_b32_e32 v78, 0xffff, v78
	v_lshlrev_b32_e32 v79, 1, v79
	v_lshlrev_b32_e32 v33, 2, v5
	v_sub_nc_u16 v10, v49, v8
	v_and_b32_e32 v84, 0xff, v9
	v_mul_lo_u16 v9, v63, 37
	v_mul_u32_u24_e32 v78, 0x62, v78
	global_load_b128 v[4:7], v33, s[8:9]
	v_lshrrev_b16 v10, 1, v10
	v_mul_u32_u24_e32 v11, 6, v84
	v_lshrrev_b16 v12, 8, v9
	v_add3_u32 v175, 0, v78, v79
	v_and_b32_e32 v79, 0xffff, v82
	v_and_b32_e32 v10, 0x7f, v10
	v_lshlrev_b32_e32 v34, 2, v11
	v_sub_nc_u16 v13, v50, v12
	v_and_b32_e32 v78, 0xffff, v81
	v_lshlrev_b32_e32 v80, 1, v80
	v_add_nc_u16 v8, v10, v8
	v_mul_u32_u24_e32 v79, 0x62, v79
	v_lshrrev_b16 v13, 1, v13
	v_mul_u32_u24_e32 v78, 0x62, v78
	v_lshlrev_b32_e32 v81, 1, v84
	v_lshrrev_b16 v83, 2, v8
	global_load_b128 v[8:11], v34, s[8:9]
	v_and_b32_e32 v13, 0x7f, v13
	v_add3_u32 v176, 0, v78, v80
	v_add3_u32 v177, 0, v79, v81
	v_mul_lo_u16 v14, v83, 7
	v_and_b32_e32 v82, 0xffff, v83
	v_add_nc_u16 v12, v13, v12
	v_mul_u32_u24_e32 v13, 0x2493, v64
	s_delay_alu instid0(VALU_DEP_4) | instskip(NEXT) | instid1(VALU_DEP_3)
	v_sub_nc_u16 v14, v49, v14
	v_lshrrev_b16 v86, 2, v12
	s_delay_alu instid0(VALU_DEP_3) | instskip(NEXT) | instid1(VALU_DEP_3)
	v_lshrrev_b32_e32 v16, 16, v13
	v_and_b32_e32 v85, 0xff, v14
	s_delay_alu instid0(VALU_DEP_3) | instskip(NEXT) | instid1(VALU_DEP_3)
	v_mul_lo_u16 v13, v86, 7
	v_sub_nc_u16 v14, v53, v16
	s_delay_alu instid0(VALU_DEP_3) | instskip(NEXT) | instid1(VALU_DEP_3)
	v_mul_u32_u24_e32 v12, 6, v85
	v_sub_nc_u16 v17, v50, v13
	s_delay_alu instid0(VALU_DEP_3) | instskip(NEXT) | instid1(VALU_DEP_3)
	v_lshrrev_b16 v18, 1, v14
	v_lshlrev_b32_e32 v35, 2, v12
	s_delay_alu instid0(VALU_DEP_3) | instskip(NEXT) | instid1(VALU_DEP_3)
	v_and_b32_e32 v91, 0xff, v17
	v_add_nc_u16 v16, v18, v16
	v_mul_u32_u24_e32 v17, 0x2493, v65
	global_load_b128 v[12:15], v35, s[8:9]
	v_mul_u32_u24_e32 v18, 6, v91
	v_lshrrev_b16 v90, 2, v16
	v_lshrrev_b32_e32 v16, 16, v17
	s_delay_alu instid0(VALU_DEP_3) | instskip(NEXT) | instid1(VALU_DEP_3)
	v_lshlrev_b32_e32 v36, 2, v18
	v_mul_lo_u16 v17, v90, 7
	s_delay_alu instid0(VALU_DEP_3) | instskip(SKIP_3) | instid1(VALU_DEP_2)
	v_sub_nc_u16 v18, v51, v16
	global_load_b128 v[24:27], v36, s[8:9]
	v_sub_nc_u16 v17, v53, v17
	v_lshrrev_b16 v18, 1, v18
	v_and_b32_e32 v88, 0xffff, v17
	s_delay_alu instid0(VALU_DEP_2) | instskip(NEXT) | instid1(VALU_DEP_2)
	v_add_nc_u16 v16, v18, v16
	v_mul_u32_u24_e32 v17, 6, v88
	s_delay_alu instid0(VALU_DEP_2) | instskip(NEXT) | instid1(VALU_DEP_2)
	v_lshrrev_b16 v89, 2, v16
	v_lshlrev_b32_e32 v129, 2, v17
	s_delay_alu instid0(VALU_DEP_2) | instskip(SKIP_2) | instid1(VALU_DEP_1)
	v_mul_lo_u16 v20, v89, 7
	global_load_b128 v[16:19], v129, s[8:9]
	v_sub_nc_u16 v20, v51, v20
	v_and_b32_e32 v87, 0xffff, v20
	s_delay_alu instid0(VALU_DEP_1) | instskip(NEXT) | instid1(VALU_DEP_1)
	v_mul_u32_u24_e32 v20, 6, v87
	v_lshlrev_b32_e32 v130, 2, v20
	s_clause 0x7
	global_load_b128 v[20:23], v130, s[8:9]
	global_load_b64 v[44:45], v32, s[8:9] offset:16
	global_load_b64 v[42:43], v33, s[8:9] offset:16
	;; [unrolled: 1-line block ×7, first 2 shown]
	ds_load_u16 v129, v52 offset:686
	ds_load_u16 v130, v52 offset:2058
	;; [unrolled: 1-line block ×15, first 2 shown]
	ds_load_u16 v142, v52
	ds_load_u16 v158, v52 offset:1960
	s_wait_loadcnt 0xd
	v_lshrrev_b32_e32 v132, 16, v0
	v_lshrrev_b32_e32 v133, 16, v1
	;; [unrolled: 1-line block ×3, first 2 shown]
	s_wait_dscnt 0x10
	s_delay_alu instid0(VALU_DEP_3)
	v_mul_f16_e64 v143, v129, v132
	v_mul_f16_e64 v132, v128, v132
	s_wait_dscnt 0xe
	v_mul_f16_e64 v144, v131, v133
	v_mul_f16_e64 v145, v130, v137
	v_fmac_f16_e64 v143, v128, v0
	v_fma_f16 v146, v129, v0, -v132
	v_mul_f16_e64 v0, v124, v133
	v_fmac_f16_e64 v144, v124, v1
	v_lshrrev_b32_e32 v124, 16, v3
	v_mul_f16_e64 v128, v127, v137
	v_fmac_f16_e64 v145, v127, v2
	v_fma_f16 v147, v131, v1, -v0
	ds_load_u16 v0, v52 offset:2842
	ds_load_u16 v159, v52 offset:2646
	;; [unrolled: 1-line block ×3, first 2 shown]
	s_wait_dscnt 0xb
	v_mul_f16_e64 v149, v134, v124
	s_wait_loadcnt 0xc
	v_lshrrev_b32_e32 v127, 16, v4
	v_mul_f16_e32 v124, v126, v124
	v_fma_f16 v148, v130, v2, -v128
	v_lshrrev_b32_e32 v2, 16, v5
	v_fmac_f16_e64 v149, v126, v3
	s_wait_dscnt 0xa
	v_mul_f16_e64 v133, v135, v127
	v_mul_f16_e32 v126, v125, v127
	v_fma_f16 v150, v134, v3, -v124
	v_lshrrev_b32_e32 v3, 16, v6
	v_mul_f16_e64 v132, v136, v2
	v_mul_f16_e32 v2, v121, v2
	v_fmac_f16_e64 v133, v125, v4
	v_fma_f16 v135, v135, v4, -v126
	v_lshrrev_b32_e32 v4, 16, v7
	v_fmac_f16_e64 v132, v121, v5
	ds_load_u16 v121, v52 offset:2254
	ds_load_u16 v160, v52 offset:2352
	;; [unrolled: 1-line block ×4, first 2 shown]
	v_fma_f16 v138, v136, v5, -v2
	s_wait_loadcnt 0xb
	v_lshrrev_b32_e32 v2, 16, v8
	s_wait_dscnt 0x4
	v_mul_f16_e64 v134, v1, v3
	v_mul_f16_e32 v3, v120, v3
	v_mul_f16_e64 v136, v0, v4
	v_mul_f16_e64 v124, v156, v2
	s_delay_alu instid0(VALU_DEP_4) | instskip(NEXT) | instid1(VALU_DEP_4)
	v_fmac_f16_e64 v134, v120, v6
	v_fma_f16 v137, v1, v6, -v3
	v_mul_f16_e32 v1, v123, v4
	ds_load_u16 v4, v52 offset:2940
	v_lshrrev_b32_e32 v3, 16, v9
	v_fmac_f16_e64 v136, v123, v7
	v_fmac_f16_e32 v124, v122, v8
	v_fma_f16 v139, v0, v7, -v1
	v_lshrrev_b32_e32 v0, 16, v10
	v_mul_f16_e32 v1, v122, v2
	v_mul_f16_e32 v2, v117, v3
	v_mul_f16_e64 v126, v155, v3
	s_wait_dscnt 0x4
	v_mul_f16_e32 v125, v121, v0
	v_mul_f16_e32 v0, v119, v0
	v_fma_f16 v127, v156, v8, -v1
	v_lshrrev_b32_e32 v1, 16, v11
	v_fma_f16 v128, v155, v9, -v2
	ds_load_u16 v155, v52 offset:3626
	ds_load_u16 v2, v52 offset:3038
	;; [unrolled: 1-line block ×7, first 2 shown]
	s_wait_loadcnt 0xa
	v_lshrrev_b32_e32 v6, 16, v12
	v_fma_f16 v130, v121, v10, -v0
	v_mul_f16_e32 v0, v116, v1
	v_fmac_f16_e32 v126, v117, v9
	s_wait_dscnt 0x7
	v_mul_f16_e64 v129, v4, v1
	v_lshrrev_b32_e32 v1, 16, v13
	v_fmac_f16_e32 v125, v119, v10
	v_fma_f16 v131, v4, v11, -v0
	v_lshrrev_b32_e32 v0, 16, v14
	v_fmac_f16_e64 v129, v116, v11
	v_mul_f16_e64 v116, v157, v6
	v_mul_f16_e64 v117, v154, v1
	v_mul_f16_e32 v1, v113, v1
	v_mul_f16_e32 v6, v118, v6
	v_lshrrev_b32_e32 v4, 16, v15
	v_fmac_f16_e32 v116, v118, v12
	v_mul_f16_e64 v118, v160, v0
	v_mul_f16_e32 v0, v106, v0
	v_fma_f16 v122, v154, v13, -v1
	s_wait_loadcnt 0x9
	v_lshrrev_b32_e32 v1, 16, v24
	s_wait_dscnt 0x5
	v_mul_f16_e32 v119, v2, v4
	v_fmac_f16_e32 v118, v106, v14
	v_fma_f16 v121, v160, v14, -v0
	v_mul_f16_e32 v0, v108, v4
	v_mul_f16_e64 v106, v153, v1
	v_lshrrev_b32_e32 v4, 16, v25
	v_mul_f16_e32 v1, v115, v1
	v_fmac_f16_e32 v117, v113, v13
	v_fmac_f16_e32 v119, v108, v15
	v_fma_f16 v123, v2, v15, -v0
	v_mul_f16_e64 v108, v152, v4
	v_lshrrev_b32_e32 v0, 16, v26
	v_fma_f16 v113, v153, v24, -v1
	v_mul_f16_e32 v1, v111, v4
	v_fmac_f16_e32 v106, v115, v24
	v_lshrrev_b32_e32 v2, 16, v27
	v_fmac_f16_e32 v108, v111, v25
	v_mul_f16_e64 v24, v161, v0
	v_mul_f16_e32 v0, v110, v0
	v_fma_f16 v111, v152, v25, -v1
	s_wait_loadcnt 0x8
	v_lshrrev_b32_e32 v1, 16, v16
	s_wait_dscnt 0x4
	v_mul_f16_e32 v25, v3, v2
	v_fmac_f16_e32 v24, v110, v26
	v_fma_f16 v26, v161, v26, -v0
	v_mul_f16_e32 v0, v112, v2
	v_mul_f16_e64 v8, v151, v1
	v_mul_f16_e32 v1, v114, v1
	v_lshrrev_b32_e32 v2, 16, v17
	v_fmac_f16_e32 v25, v112, v27
	v_fma_f16 v27, v3, v27, -v0
	v_lshrrev_b32_e32 v0, 16, v18
	v_fma_f16 v11, v151, v16, -v1
	v_mul_f16_e32 v1, v101, v2
	v_fmac_f16_e32 v8, v114, v16
	v_mul_f16_e64 v10, v141, v2
	v_mul_f16_e64 v9, v162, v0
	v_lshrrev_b32_e32 v2, 16, v19
	v_mul_f16_e32 v0, v104, v0
	v_fma_f16 v13, v141, v17, -v1
	s_wait_loadcnt 0x7
	v_lshrrev_b32_e32 v1, 16, v20
	v_lshrrev_b32_e32 v4, 16, v21
	ds_load_u16 v16, v52 offset:4116
	v_fma_f16 v120, v157, v12, -v6
	v_fmac_f16_e32 v10, v101, v17
	s_wait_dscnt 0x4
	v_mul_f16_e32 v12, v5, v2
	v_fma_f16 v14, v162, v18, -v0
	v_mul_f16_e32 v2, v102, v2
	v_mul_f16_e64 v0, v140, v1
	v_mul_f16_e32 v3, v109, v1
	v_mul_f16_e64 v1, v158, v4
	v_mul_f16_e32 v4, v107, v4
	v_lshrrev_b32_e32 v17, 16, v23
	v_fmac_f16_e32 v9, v104, v18
	v_fmac_f16_e32 v12, v102, v19
	v_fma_f16 v15, v5, v19, -v2
	ds_load_u16 v19, v52 offset:4214
	v_fma_f16 v5, v158, v21, -v4
	s_wait_loadcnt 0x6
	v_lshrrev_b32_e32 v18, 16, v44
	s_wait_dscnt 0x4
	v_mul_f16_e32 v4, v7, v17
	v_mul_f16_e32 v17, v103, v17
	v_fmac_f16_e32 v0, v109, v20
	v_fma_f16 v3, v140, v20, -v3
	s_wait_dscnt 0x2
	v_mul_f16_e64 v101, v163, v18
	v_fmac_f16_e32 v4, v103, v23
	v_fma_f16 v7, v7, v23, -v17
	v_lshrrev_b32_e32 v17, 16, v45
	ds_load_u16 v103, v52 offset:4312
	ds_load_u16 v104, v52 offset:4410
	;; [unrolled: 1-line block ×3, first 2 shown]
	v_mul_f16_e32 v18, v100, v18
	v_fmac_f16_e32 v101, v100, v44
	s_wait_loadcnt 0x5
	v_lshrrev_b32_e32 v20, 16, v42
	s_wait_dscnt 0x4
	v_mul_f16_e32 v100, v16, v17
	v_mul_f16_e32 v17, v99, v17
	v_lshrrev_b32_e32 v6, 16, v22
	v_fma_f16 v44, v163, v44, -v18
	v_lshrrev_b32_e32 v18, 16, v43
	v_fmac_f16_e32 v100, v99, v45
	v_fma_f16 v45, v16, v45, -v17
	v_mul_f16_e32 v16, v98, v20
	v_mul_f16_e64 v2, v159, v6
	v_mul_f16_e32 v6, v105, v6
	v_mul_f16_e64 v114, v156, v20
	ds_load_u16 v20, v52 offset:3724
	s_wait_dscnt 0x4
	v_mul_f16_e32 v115, v19, v18
	s_wait_loadcnt 0x4
	v_lshrrev_b32_e32 v17, 16, v40
	v_fma_f16 v140, v156, v42, -v16
	v_mul_f16_e32 v16, v97, v18
	v_lshrrev_b32_e32 v18, 16, v41
	v_fmac_f16_e32 v1, v107, v21
	v_fmac_f16_e32 v2, v105, v22
	v_fma_f16 v6, v159, v22, -v6
	v_mul_f16_e64 v21, v155, v17
	v_mul_f16_e32 v17, v92, v17
	v_fma_f16 v141, v19, v43, -v16
	s_wait_dscnt 0x3
	v_mul_f16_e32 v22, v103, v18
	v_mul_f16_e32 v16, v94, v18
	v_fmac_f16_e32 v114, v98, v42
	ds_load_u16 v42, v52 offset:3822
	v_fmac_f16_e32 v21, v92, v40
	v_fma_f16 v23, v155, v40, -v17
	v_fmac_f16_e32 v22, v94, v41
	v_fma_f16 v40, v103, v41, -v16
	ds_load_u16 v41, v52 offset:3920
	ds_load_u16 v94, v52 offset:4508
	;; [unrolled: 1-line block ×3, first 2 shown]
	s_wait_loadcnt 0x3
	v_lshrrev_b32_e32 v18, 16, v38
	v_lshrrev_b32_e32 v19, 16, v39
	v_fmac_f16_e32 v115, v97, v43
	s_wait_loadcnt 0x2
	v_lshrrev_b32_e32 v97, 16, v36
	v_sub_f16_e32 v107, v123, v121
	s_wait_dscnt 0x4
	v_mul_f16_e32 v17, v20, v18
	v_mul_f16_e32 v16, v96, v18
	v_mul_f16_e32 v18, v104, v19
	v_mul_f16_e32 v43, v93, v19
	v_sub_f16_e64 v159, v27, v26
	v_fmac_f16_e32 v17, v96, v38
	v_fma_f16 v19, v20, v38, -v16
	v_fmac_f16_e32 v18, v93, v39
	v_fma_f16 v20, v104, v39, -v43
	v_lshrrev_b32_e32 v39, 16, v37
	ds_load_u16 v43, v52 offset:4704
	s_wait_dscnt 0x4
	v_mul_f16_e32 v16, v42, v97
	v_mul_f16_e32 v96, v95, v97
	s_wait_loadcnt 0x1
	v_lshrrev_b32_e32 v93, 16, v34
	s_wait_dscnt 0x2
	v_mul_f16_e64 v153, v94, v39
	v_sub_f16_e32 v105, v122, v19
	v_fmac_f16_e32 v16, v95, v36
	v_fma_f16 v154, v42, v36, -v96
	v_mul_f16_e32 v36, v75, v39
	v_lshrrev_b32_e32 v42, 16, v35
	v_fmac_f16_e64 v153, v75, v37
	v_mul_f16_e32 v75, v74, v93
	v_mul_f16_e32 v39, v41, v93
	v_fma_f16 v155, v94, v37, -v36
	s_wait_dscnt 0x1
	v_mul_f16_e32 v37, v92, v42
	s_wait_loadcnt 0x0
	v_lshrrev_b32_e32 v36, 16, v32
	v_fma_f16 v151, v41, v34, -v75
	v_lshrrev_b32_e32 v41, 16, v33
	v_fmac_f16_e32 v39, v74, v34
	v_mul_f16_e32 v42, v73, v42
	v_fmac_f16_e32 v37, v73, v35
	v_mul_f16_e32 v34, v102, v36
	v_mul_f16_e32 v73, v76, v36
	s_wait_dscnt 0x0
	v_mul_f16_e32 v36, v43, v41
	v_mul_f16_e32 v41, v77, v41
	v_sub_f16_e64 v74, v144, v101
	v_fmac_f16_e32 v34, v76, v32
	v_fma_f16 v32, v102, v32, -v73
	v_fmac_f16_e32 v36, v77, v33
	v_fma_f16 v33, v43, v33, -v41
	v_add_f16_e64 v41, v143, v100
	v_add_f16_e64 v73, v144, v101
	;; [unrolled: 1-line block ×5, first 2 shown]
	v_sub_f16_e64 v77, v149, v145
	v_add_f16_e32 v93, v73, v41
	v_fma_f16 v35, v92, v35, -v42
	v_sub_f16_e64 v42, v143, v100
	v_sub_f16_e64 v44, v147, v44
	v_add_f16_e64 v92, v148, v150
	v_sub_f16_e64 v94, v150, v148
	v_sub_f16_e32 v95, v73, v41
	v_sub_f16_e32 v41, v41, v76
	v_sub_f16_e32 v73, v76, v73
	v_add_f16_e32 v76, v76, v93
	v_add_f16_e32 v93, v75, v43
	;; [unrolled: 1-line block ×3, first 2 shown]
	v_sub_f16_e64 v45, v146, v45
	v_sub_f16_e32 v96, v75, v43
	v_sub_f16_e32 v43, v43, v92
	v_sub_f16_e32 v75, v92, v75
	v_add_f16_e32 v92, v92, v93
	v_sub_f16_e32 v93, v77, v74
	v_sub_f16_e32 v77, v42, v77
	;; [unrolled: 1-line block ×3, first 2 shown]
	v_add_f16_e32 v42, v97, v42
	v_add_f16_e32 v97, v94, v44
	v_sub_f16_e32 v98, v94, v44
	v_mul_f16_e32 v41, 0x3a52, v41
	v_sub_f16_e32 v94, v45, v94
	v_sub_f16_e32 v44, v44, v45
	v_mul_f16_e32 v99, 0x2b26, v73
	v_add_f16_e32 v45, v97, v45
	v_mul_f16_e32 v43, 0x3a52, v43
	v_mul_f16_e32 v97, 0x2b26, v75
	v_fmamk_f16 v73, v73, 0x2b26, v41
	v_fma_f16 v99, v95, 0x39e0, -v99
	v_fma_f16 v41, v95, 0xb9e0, -v41
	v_mul_f16_e32 v93, 0x3846, v93
	v_fmamk_f16 v75, v75, 0x2b26, v43
	v_fma_f16 v95, v96, 0x39e0, -v97
	v_fma_f16 v43, v96, 0xb9e0, -v43
	v_mul_f16_e32 v96, 0xbb00, v74
	v_add_f16_e32 v72, v72, v76
	v_add_f16_e64 v144, v142, v92
	v_fma_f16 v74, v74, 0xbb00, -v93
	v_fmamk_f16 v93, v77, 0xb574, v93
	v_mul_f16_e32 v97, 0x3846, v98
	v_fma_f16 v77, v77, 0x3574, -v96
	v_mul_f16_e32 v96, 0xbb00, v44
	v_fmamk_f16 v76, v76, 0xbcab, v72
	v_fma_f16 v92, 0xbcab, v92, v144
	v_fma_f16 v44, v44, 0xbb00, -v97
	v_fmamk_f16 v97, v94, 0xb574, v97
	v_fma_f16 v94, v94, 0x3574, -v96
	v_add_f16_e32 v73, v73, v76
	v_add_f16_e32 v96, v99, v76
	v_add_f16_e32 v41, v41, v76
	v_add_f16_e32 v76, v95, v92
	v_fmac_f16_e32 v74, 0xb70e, v42
	v_add_f16_e32 v75, v75, v92
	v_add_f16_e32 v43, v43, v92
	v_fmac_f16_e32 v93, 0xb70e, v42
	v_fmac_f16_e32 v77, 0xb70e, v42
	;; [unrolled: 1-line block ×3, first 2 shown]
	v_add_f16_e64 v145, v74, v76
	v_sub_f16_e64 v146, v76, v74
	v_add_f16_e64 v74, v133, v115
	v_add_f16_e64 v76, v132, v114
	v_fmac_f16_e32 v44, 0xb70e, v45
	v_fmac_f16_e32 v97, 0xb70e, v45
	v_add_f16_e32 v45, v94, v41
	v_sub_f16_e32 v41, v41, v94
	v_sub_f16_e64 v148, v43, v77
	v_add_f16_e64 v147, v77, v43
	v_sub_f16_e64 v150, v75, v93
	v_add_f16_e64 v149, v93, v75
	v_add_f16_e64 v75, v134, v136
	v_add_f16_e32 v77, v76, v74
	v_sub_f16_e64 v93, v138, v140
	v_sub_f16_e64 v94, v139, v137
	v_sub_f16_e32 v42, v96, v44
	v_add_f16_e32 v44, v44, v96
	v_sub_f16_e32 v92, v76, v74
	v_sub_f16_e32 v74, v74, v75
	v_sub_f16_e64 v95, v135, v141
	v_sub_f16_e32 v76, v75, v76
	v_add_f16_e32 v75, v75, v77
	v_add_f16_e32 v77, v94, v93
	v_sub_f16_e32 v96, v94, v93
	v_sub_f16_e32 v94, v95, v94
	;; [unrolled: 1-line block ×3, first 2 shown]
	v_add_f16_e32 v71, v71, v75
	v_add_f16_e32 v77, v77, v95
	v_mul_f16_e32 v95, 0x2b26, v76
	v_mul_f16_e32 v96, 0x3846, v96
	v_add_f16_e32 v43, v97, v73
	v_sub_f16_e32 v73, v73, v97
	v_mul_f16_e32 v74, 0x3a52, v74
	v_mul_f16_e32 v97, 0xbb00, v93
	v_fma_f16 v95, v92, 0x39e0, -v95
	v_fmamk_f16 v75, v75, 0xbcab, v71
	v_fma_f16 v93, v93, 0xbb00, -v96
	v_fmamk_f16 v76, v76, 0x2b26, v74
	v_fma_f16 v74, v92, 0xb9e0, -v74
	v_fma_f16 v92, v94, 0x3574, -v97
	v_fmamk_f16 v94, v94, 0xb574, v96
	v_add_f16_e32 v95, v95, v75
	v_fmac_f16_e32 v93, 0xb70e, v77
	v_add_f16_e32 v74, v74, v75
	v_fmac_f16_e32 v92, 0xb70e, v77
	;; [unrolled: 2-line block ×3, first 2 shown]
	v_sub_f16_e32 v76, v95, v93
	v_add_f16_e32 v77, v93, v95
	v_add_f16_e32 v95, v124, v22
	;; [unrolled: 1-line block ×4, first 2 shown]
	v_sub_f16_e32 v74, v74, v92
	v_add_f16_e32 v92, v94, v75
	v_sub_f16_e32 v75, v75, v94
	v_add_f16_e64 v94, v125, v129
	v_add_f16_e32 v97, v96, v95
	v_sub_f16_e64 v99, v128, v23
	v_sub_f16_e64 v100, v131, v130
	v_sub_f16_e32 v98, v96, v95
	v_sub_f16_e32 v95, v95, v94
	;; [unrolled: 1-line block ×4, first 2 shown]
	v_add_f16_e32 v94, v94, v97
	v_add_f16_e32 v97, v100, v99
	v_sub_f16_e32 v102, v100, v99
	v_sub_f16_e32 v100, v101, v100
	;; [unrolled: 1-line block ×3, first 2 shown]
	v_add_f16_e32 v70, v70, v94
	v_add_f16_e32 v97, v97, v101
	v_mul_f16_e32 v101, 0x2b26, v96
	v_mul_f16_e32 v102, 0x3846, v102
	;; [unrolled: 1-line block ×4, first 2 shown]
	v_fmamk_f16 v94, v94, 0xbcab, v70
	v_fma_f16 v101, v98, 0x39e0, -v101
	v_fma_f16 v99, v99, 0xbb00, -v102
	v_fmamk_f16 v96, v96, 0x2b26, v95
	v_fma_f16 v95, v98, 0xb9e0, -v95
	v_fma_f16 v98, v100, 0x3574, -v103
	v_fmamk_f16 v100, v100, 0xb574, v102
	v_add_f16_e32 v101, v101, v94
	v_fmac_f16_e32 v99, 0xb70e, v97
	v_add_f16_e32 v95, v95, v94
	v_fmac_f16_e32 v98, 0xb70e, v97
	;; [unrolled: 2-line block ×3, first 2 shown]
	v_sub_f16_e32 v96, v101, v99
	v_add_f16_e32 v97, v99, v101
	v_add_f16_e32 v101, v116, v18
	;; [unrolled: 1-line block ×4, first 2 shown]
	v_sub_f16_e32 v95, v95, v98
	v_add_f16_e32 v98, v100, v94
	v_sub_f16_e32 v94, v94, v100
	v_add_f16_e32 v100, v118, v119
	v_add_f16_e32 v103, v102, v101
	v_sub_f16_e32 v104, v102, v101
	v_sub_f16_e32 v109, v120, v20
	;; [unrolled: 1-line block ×5, first 2 shown]
	v_add_f16_e32 v100, v100, v103
	v_add_f16_e32 v103, v107, v105
	v_sub_f16_e32 v107, v109, v107
	v_sub_f16_e32 v105, v105, v109
	v_mul_f16_e32 v110, 0x3846, v110
	v_add_f16_e32 v69, v69, v100
	v_add_f16_e32 v103, v103, v109
	v_mul_f16_e32 v109, 0x2b26, v102
	v_mul_f16_e32 v101, 0x3a52, v101
	;; [unrolled: 1-line block ×3, first 2 shown]
	v_fmamk_f16 v100, v100, 0xbcab, v69
	v_fma_f16 v105, v105, 0xbb00, -v110
	v_fma_f16 v109, v104, 0x39e0, -v109
	v_fmamk_f16 v102, v102, 0x2b26, v101
	v_fma_f16 v101, v104, 0xb9e0, -v101
	v_fma_f16 v104, v107, 0x3574, -v112
	v_fmamk_f16 v107, v107, 0xb574, v110
	v_add_f16_e32 v109, v109, v100
	v_fmac_f16_e32 v105, 0xb70e, v103
	v_add_f16_e32 v101, v101, v100
	v_fmac_f16_e32 v104, 0xb70e, v103
	;; [unrolled: 2-line block ×3, first 2 shown]
	v_sub_f16_e32 v102, v109, v105
	v_add_f16_e32 v103, v105, v109
	v_add_f16_e64 v109, v106, v153
	v_add_f16_e32 v110, v108, v16
	v_add_f16_e32 v105, v104, v101
	v_sub_f16_e32 v101, v101, v104
	v_add_f16_e32 v104, v107, v100
	v_sub_f16_e32 v100, v100, v107
	v_add_f16_e32 v107, v24, v25
	v_add_f16_e32 v112, v110, v109
	v_sub_f16_e64 v143, v111, v154
	v_sub_f16_e64 v142, v110, v109
	;; [unrolled: 1-line block ×3, first 2 shown]
	v_sub_f16_e32 v109, v109, v107
	v_sub_f16_e32 v110, v107, v110
	v_add_f16_e32 v107, v107, v112
	v_add_f16_e64 v112, v159, v143
	v_sub_f16_e64 v161, v159, v143
	v_sub_f16_e64 v159, v160, v159
	;; [unrolled: 1-line block ×3, first 2 shown]
	v_add_f16_e32 v68, v68, v107
	v_add_f16_e64 v112, v112, v160
	v_mul_f16_e64 v160, 0x2b26, v110
	v_mul_f16_e64 v161, 0x3846, v161
	v_mul_f16_e32 v109, 0x3a52, v109
	v_mul_f16_e64 v162, 0xbb00, v143
	v_fmamk_f16 v107, v107, 0xbcab, v68
	v_fma_f16 v160, v142, 0x39e0, -v160
	v_fma_f16 v143, v143, 0xbb00, -v161
	v_fmamk_f16 v110, v110, 0x2b26, v109
	v_fma_f16 v109, v142, 0xb9e0, -v109
	v_fma_f16 v142, v159, 0x3574, -v162
	v_fma_f16 v159, 0xb574, v159, v161
	v_add_f16_e64 v160, v160, v107
	v_fmac_f16_e64 v143, 0xb70e, v112
	v_add_f16_e32 v109, v109, v107
	v_fmac_f16_e64 v142, 0xb70e, v112
	v_add_f16_e32 v107, v110, v107
	v_fmac_f16_e64 v159, 0xb70e, v112
	v_sub_f16_e64 v110, v160, v143
	v_add_f16_e64 v112, v143, v160
	v_add_f16_e64 v143, v8, v37
	;; [unrolled: 1-line block ×4, first 2 shown]
	v_sub_f16_e64 v109, v109, v142
	v_add_f16_e64 v142, v9, v12
	v_add_f16_e64 v162, v159, v107
	v_sub_f16_e64 v107, v107, v159
	v_add_f16_e64 v159, v160, v143
	v_sub_f16_e64 v164, v13, v151
	v_sub_f16_e64 v165, v15, v14
	;; [unrolled: 1-line block ×6, first 2 shown]
	v_add_f16_e64 v142, v142, v159
	v_add_f16_e64 v159, v165, v164
	v_sub_f16_e64 v167, v165, v164
	v_sub_f16_e64 v164, v164, v166
	v_sub_f16_e64 v165, v166, v165
	v_mul_f16_e64 v143, 0x3a52, v143
	v_add_f16_e64 v159, v159, v166
	v_mul_f16_e64 v166, 0x2b26, v160
	v_add_f16_e64 v66, v66, v142
	v_mul_f16_e64 v167, 0x3846, v167
	v_mul_f16_e64 v168, 0xbb00, v164
	v_fma_f16 v160, 0x2b26, v160, v143
	v_fma_f16 v166, v163, 0x39e0, -v166
	v_fma_f16 v142, 0xbcab, v142, v66
	v_fma_f16 v143, v163, 0xb9e0, -v143
	v_fma_f16 v163, v165, 0x3574, -v168
	v_fma_f16 v165, 0xb574, v165, v167
	v_fma_f16 v164, v164, 0xbb00, -v167
	v_add_f16_e64 v166, v166, v142
	v_add_f16_e64 v143, v143, v142
	v_add_f16_e64 v142, v160, v142
	v_fmac_f16_e64 v165, 0xb70e, v159
	v_fmac_f16_e64 v164, 0xb70e, v159
	;; [unrolled: 1-line block ×3, first 2 shown]
	v_add_f16_e64 v159, v0, v36
	v_add_f16_e64 v160, v1, v34
	;; [unrolled: 1-line block ×3, first 2 shown]
	v_sub_f16_e64 v165, v142, v165
	v_add_f16_e64 v142, v2, v4
	v_sub_f16_e64 v167, v166, v164
	v_add_f16_e64 v164, v164, v166
	v_add_f16_e64 v166, v163, v143
	v_sub_f16_e64 v163, v143, v163
	v_add_f16_e64 v143, v160, v159
	v_sub_f16_e64 v169, v160, v159
	v_sub_f16_e64 v170, v5, v32
	v_sub_f16_e64 v171, v7, v6
	v_sub_f16_e64 v172, v3, v33
	v_sub_f16_e64 v160, v142, v160
	ds_load_u16 v156, v57
	ds_load_u16 v152, v58
	;; [unrolled: 1-line block ×5, first 2 shown]
	v_sub_f16_e64 v159, v159, v142
	v_add_f16_e64 v142, v142, v143
	v_add_f16_e64 v143, v171, v170
	v_sub_f16_e64 v173, v171, v170
	v_sub_f16_e64 v170, v170, v172
	v_mul_f16_e64 v174, 0x2b26, v160
	v_add_f16_e64 v135, v135, v141
	v_add_f16_e64 v138, v138, v140
	v_sub_f16_e64 v171, v172, v171
	v_mul_f16_e64 v159, 0x3a52, v159
	v_add_f16_e64 v143, v143, v172
	v_mul_f16_e64 v172, 0x3846, v173
	v_fma_f16 v173, v169, 0x39e0, -v174
	v_mul_f16_e64 v174, 0xbb00, v170
	v_add_f16_e32 v40, v127, v40
	v_add_f16_e64 v23, v128, v23
	v_sub_f16_e64 v115, v133, v115
	v_add_f16_e64 v133, v137, v139
	v_sub_f16_e64 v114, v132, v114
	;; [unrolled: 2-line block ×3, first 2 shown]
	v_fma_f16 v160, 0x2b26, v160, v159
	v_fma_f16 v159, v169, 0xb9e0, -v159
	v_fma_f16 v169, v170, 0xbb00, -v172
	v_fma_f16 v170, 0xb574, v171, v172
	v_fma_f16 v171, v171, 0x3574, -v174
	v_sub_f16_e32 v22, v124, v22
	v_add_f16_e64 v124, v130, v131
	v_sub_f16_e32 v21, v126, v21
	v_add_f16_e32 v126, v23, v40
	v_sub_f16_e64 v125, v129, v125
	v_add_f16_e32 v20, v120, v20
	v_add_f16_e32 v19, v122, v19
	v_sub_f16_e64 v136, v138, v135
	v_sub_f16_e64 v135, v135, v133
	;; [unrolled: 1-line block ×3, first 2 shown]
	v_add_f16_e64 v132, v133, v132
	v_add_f16_e64 v133, v134, v114
	v_sub_f16_e64 v138, v134, v114
	v_sub_f16_e32 v114, v114, v115
	v_add_f16_e64 v67, v67, v142
	v_fmac_f16_e64 v169, 0xb70e, v143
	v_fmac_f16_e64 v171, 0xb70e, v143
	;; [unrolled: 1-line block ×3, first 2 shown]
	ds_load_u16 v143, v60
	global_wb scope:SCOPE_SE
	s_wait_dscnt 0x0
	s_barrier_signal -1
	s_barrier_wait -1
	global_inv scope:SCOPE_SE
	ds_store_b16 v175, v72
	ds_store_b16 v175, v43 offset:14
	ds_store_b16 v175, v45 offset:28
	;; [unrolled: 1-line block ×6, first 2 shown]
	v_and_b32_e32 v41, 0xffff, v86
	v_mul_u32_u24_e32 v42, 0x62, v82
	v_lshlrev_b32_e32 v43, 1, v85
	v_sub_f16_e64 v128, v23, v40
	v_sub_f16_e32 v40, v40, v124
	v_sub_f16_e32 v23, v124, v23
	v_add_f16_e32 v124, v124, v126
	v_add_f16_e32 v126, v125, v21
	v_sub_f16_e64 v129, v125, v21
	v_sub_f16_e32 v18, v116, v18
	v_add_f16_e32 v116, v121, v123
	v_sub_f16_e32 v17, v117, v17
	v_add_f16_e32 v117, v19, v20
	v_sub_f16_e32 v118, v119, v118
	v_sub_f16_e64 v134, v115, v134
	v_mul_f16_e64 v135, 0x3a52, v135
	v_mul_f16_e64 v139, 0x2b26, v137
	v_add_f16_e64 v115, v133, v115
	v_add_f16_e64 v133, v158, v132
	v_mul_f16_e64 v138, 0x3846, v138
	v_sub_f16_e32 v21, v21, v22
	v_mul_f16_e64 v140, 0xbb00, v114
	v_fma_f16 v142, 0xbcab, v142, v67
	v_mul_u32_u24_e32 v41, 0x62, v41
	v_lshlrev_b32_e32 v44, 1, v91
	v_add3_u32 v178, 0, v42, v43
	v_and_b32_e32 v42, 0xffff, v90
	v_sub_f16_e32 v125, v22, v125
	v_mul_f16_e32 v40, 0x3a52, v40
	v_mul_f16_e64 v130, 0x2b26, v23
	v_add_f16_e32 v22, v126, v22
	v_add_f16_e64 v126, v157, v124
	v_mul_f16_e64 v129, 0x3846, v129
	v_sub_f16_e32 v119, v19, v20
	v_sub_f16_e32 v20, v20, v116
	;; [unrolled: 1-line block ×3, first 2 shown]
	v_add_f16_e32 v116, v116, v117
	v_add_f16_e32 v117, v118, v17
	v_sub_f16_e32 v120, v118, v17
	v_fma_f16 v137, 0x2b26, v137, v135
	v_fma_f16 v139, v136, 0x39e0, -v139
	v_fma_f16 v132, 0xbcab, v132, v133
	v_fma_f16 v135, v136, 0xb9e0, -v135
	v_fma_f16 v136, 0xb574, v134, v138
	v_mul_f16_e64 v131, 0xbb00, v21
	v_sub_f16_e32 v17, v17, v18
	v_fma_f16 v114, v114, 0xbb00, -v138
	v_fma_f16 v134, v134, 0x3574, -v140
	v_add_f16_e64 v160, v160, v142
	v_add_f16_e64 v172, v173, v142
	;; [unrolled: 1-line block ×3, first 2 shown]
	v_add3_u32 v159, 0, v41, v44
	v_and_b32_e32 v41, 0xffff, v89
	v_mul_u32_u24_e32 v42, 0x62, v42
	v_lshlrev_b32_e32 v43, 1, v88
	v_fmamk_f16 v23, v23, 0x2b26, v40
	v_fma_f16 v130, v128, 0x39e0, -v130
	v_fmamk_f16 v124, v124, 0xbcab, v126
	v_fma_f16 v40, v128, 0xb9e0, -v40
	v_fma_f16 v128, 0xb574, v125, v129
	v_sub_f16_e32 v118, v18, v118
	v_mul_f16_e32 v20, 0x3a52, v20
	v_mul_f16_e32 v121, 0x2b26, v19
	v_add_f16_e32 v18, v117, v18
	v_add_f16_e64 v117, v156, v116
	v_mul_f16_e32 v120, 0x3846, v120
	v_add_f16_e64 v137, v137, v132
	v_fmac_f16_e64 v136, 0xb70e, v115
	v_fma_f16 v125, v125, 0x3574, -v131
	v_mul_f16_e32 v122, 0xbb00, v17
	v_add_f16_e64 v138, v139, v132
	v_fmac_f16_e32 v114, 0xb70e, v115
	v_add_f16_e64 v132, v135, v132
	v_fmac_f16_e64 v134, 0xb70e, v115
	v_fma_f16 v21, v21, 0xbb00, -v129
	v_add_f16_e64 v174, v170, v160
	v_sub_f16_e64 v170, v160, v170
	v_mul_u32_u24_e32 v41, 0x62, v41
	v_lshlrev_b32_e32 v44, 1, v87
	v_add3_u32 v160, 0, v42, v43
	v_add_f16_e32 v23, v23, v124
	v_fmac_f16_e64 v128, 0xb70e, v22
	v_fmamk_f16 v19, v19, 0x2b26, v20
	v_fma_f16 v121, v119, 0x39e0, -v121
	v_fmamk_f16 v116, v116, 0xbcab, v117
	v_fma_f16 v20, v119, 0xb9e0, -v20
	v_fmamk_f16 v119, v118, 0xb574, v120
	v_sub_f16_e64 v135, v137, v136
	v_add_f16_e32 v40, v40, v124
	v_fmac_f16_e32 v125, 0xb70e, v22
	v_fma_f16 v118, v118, 0x3574, -v122
	v_add_f16_e64 v115, v114, v138
	v_sub_f16_e64 v114, v138, v114
	v_sub_f16_e64 v138, v132, v134
	v_add_f16_e64 v129, v130, v124
	v_fmac_f16_e32 v21, 0xb70e, v22
	v_fma_f16 v17, v17, 0xbb00, -v120
	v_sub_f16_e64 v173, v172, v169
	v_add_f16_e64 v169, v169, v172
	v_add_f16_e64 v172, v171, v142
	v_sub_f16_e64 v171, v142, v171
	ds_store_b16 v176, v71
	ds_store_b16 v176, v92 offset:14
	ds_store_b16 v176, v93 offset:28
	ds_store_b16 v176, v76 offset:42
	ds_store_b16 v176, v77 offset:56
	ds_store_b16 v176, v74 offset:70
	ds_store_b16 v176, v75 offset:84
	ds_store_b16 v177, v70
	ds_store_b16 v177, v98 offset:14
	ds_store_b16 v177, v99 offset:28
	ds_store_b16 v177, v96 offset:42
	ds_store_b16 v177, v97 offset:56
	ds_store_b16 v177, v95 offset:70
	ds_store_b16 v177, v94 offset:84
	;; [unrolled: 7-line block ×4, first 2 shown]
	v_add3_u32 v142, 0, v41, v44
	ds_store_b16 v160, v66
	ds_store_b16 v160, v168 offset:14
	ds_store_b16 v160, v166 offset:28
	;; [unrolled: 1-line block ×6, first 2 shown]
	ds_store_b16 v142, v67
	ds_store_b16 v142, v174 offset:14
	ds_store_b16 v142, v172 offset:28
	;; [unrolled: 1-line block ×6, first 2 shown]
	global_wb scope:SCOPE_SE
	s_wait_dscnt 0x0
	s_barrier_signal -1
	s_barrier_wait -1
	global_inv scope:SCOPE_SE
	ds_load_u16 v74, v52 offset:3626
	ds_load_u16 v75, v52 offset:4312
	;; [unrolled: 1-line block ×3, first 2 shown]
	ds_load_u16 v44, v57
	ds_load_u16 v43, v58
	;; [unrolled: 1-line block ×3, first 2 shown]
	ds_load_u16 v104, v52 offset:1372
	ds_load_u16 v102, v52 offset:1470
	ds_load_u16 v99, v52 offset:1568
	ds_load_u16 v93, v52 offset:1666
	ds_load_u16 v90, v52 offset:1764
	ds_load_u16 v85, v52 offset:1862
	ds_load_u16 v101, v52 offset:2156
	ds_load_u16 v97, v52 offset:2254
	ds_load_u16 v95, v52 offset:2352
	ds_load_u16 v91, v52 offset:2450
	ds_load_u16 v83, v52 offset:2548
	ds_load_u16 v98, v52 offset:2940
	ds_load_u16 v94, v52 offset:3038
	ds_load_u16 v89, v52 offset:3136
	ds_load_u16 v84, v52 offset:3234
	ds_load_u16 v77, v52 offset:3724
	ds_load_u16 v76, v52 offset:3822
	ds_load_u16 v69, v52 offset:3920
	ds_load_u16 v70, v52 offset:4508
	ds_load_u16 v68, v52 offset:4606
	ds_load_u16 v41, v60
	ds_load_u16 v67, v52
	ds_load_u16 v112, v52 offset:686
	ds_load_u16 v107, v52 offset:784
	;; [unrolled: 1-line block ×18, first 2 shown]
	ds_load_u16 v45, v56
	ds_load_u16 v66, v55
	ds_load_u16 v72, v52 offset:4704
	global_wb scope:SCOPE_SE
	s_wait_dscnt 0x0
	s_barrier_signal -1
	s_barrier_wait -1
	global_inv scope:SCOPE_SE
	ds_store_b16 v175, v144
	ds_store_b16 v175, v150 offset:14
	ds_store_b16 v175, v148 offset:28
	;; [unrolled: 1-line block ×6, first 2 shown]
	v_add_f16_e64 v132, v134, v132
	v_add_f16_e64 v127, v136, v137
	ds_store_b16 v176, v133
	ds_store_b16 v176, v135 offset:14
	ds_store_b16 v176, v138 offset:28
	;; [unrolled: 1-line block ×6, first 2 shown]
	v_sub_f16_e64 v114, v23, v128
	v_add_f16_e32 v19, v19, v116
	v_fmac_f16_e32 v119, 0xb70e, v18
	v_sub_f16_e32 v115, v40, v125
	v_add_f16_e32 v20, v20, v116
	v_fmac_f16_e32 v118, 0xb70e, v18
	v_add_f16_e64 v22, v21, v129
	v_add_f16_e32 v120, v121, v116
	v_fmac_f16_e32 v17, 0xb70e, v18
	v_sub_f16_e64 v21, v129, v21
	v_add_f16_e32 v40, v125, v40
	v_add_f16_e64 v23, v128, v23
	ds_store_b16 v177, v126
	ds_store_b16 v177, v114 offset:14
	ds_store_b16 v177, v115 offset:28
	;; [unrolled: 1-line block ×6, first 2 shown]
	v_add_f16_e64 v23, v113, v155
	v_add_f16_e64 v40, v111, v154
	v_sub_f16_e32 v21, v19, v119
	v_sub_f16_e32 v22, v20, v118
	v_add_f16_e32 v18, v17, v120
	v_sub_f16_e32 v17, v120, v17
	v_add_f16_e32 v20, v118, v20
	v_add_f16_e32 v19, v119, v19
	ds_store_b16 v178, v117
	ds_store_b16 v178, v21 offset:14
	ds_store_b16 v178, v22 offset:28
	;; [unrolled: 1-line block ×6, first 2 shown]
	v_sub_f16_e64 v17, v106, v153
	v_add_f16_e32 v18, v26, v27
	v_sub_f16_e32 v16, v108, v16
	v_add_f16_e32 v19, v40, v23
	v_sub_f16_e32 v20, v25, v24
	v_sub_f16_e32 v21, v40, v23
	;; [unrolled: 1-line block ×4, first 2 shown]
	v_add_f16_e32 v18, v18, v19
	v_add_f16_e32 v19, v20, v16
	v_sub_f16_e32 v24, v20, v16
	v_sub_f16_e32 v16, v16, v17
	;; [unrolled: 1-line block ×3, first 2 shown]
	v_mul_f16_e32 v22, 0x3a52, v22
	v_add_f16_e32 v17, v19, v17
	v_mul_f16_e32 v19, 0x2b26, v23
	v_add_f16_e64 v25, v152, v18
	v_mul_f16_e32 v24, 0x3846, v24
	v_mul_f16_e32 v26, 0xbb00, v16
	v_fmamk_f16 v23, v23, 0x2b26, v22
	v_fma_f16 v19, v21, 0x39e0, -v19
	v_fmamk_f16 v18, v18, 0xbcab, v25
	v_fma_f16 v16, v16, 0xbb00, -v24
	v_fma_f16 v21, v21, 0xb9e0, -v22
	;; [unrolled: 1-line block ×3, first 2 shown]
	v_fmamk_f16 v20, v20, 0xb574, v24
	v_add_f16_e32 v11, v11, v35
	v_add_f16_e64 v13, v13, v151
	v_add_f16_e32 v19, v19, v18
	v_fmac_f16_e32 v16, 0xb70e, v17
	v_add_f16_e32 v21, v21, v18
	v_fmac_f16_e32 v22, 0xb70e, v17
	;; [unrolled: 2-line block ×3, first 2 shown]
	v_sub_f16_e32 v8, v8, v37
	v_add_f16_e32 v14, v14, v15
	v_sub_f16_e32 v10, v10, v39
	v_add_f16_e32 v15, v13, v11
	;; [unrolled: 2-line block ×3, first 2 shown]
	v_sub_f16_e32 v16, v19, v16
	v_sub_f16_e32 v19, v21, v22
	v_add_f16_e32 v21, v22, v21
	v_sub_f16_e32 v22, v18, v20
	v_add_f16_e32 v18, v20, v18
	v_sub_f16_e32 v12, v13, v11
	v_sub_f16_e32 v11, v11, v14
	;; [unrolled: 1-line block ×3, first 2 shown]
	v_add_f16_e32 v14, v14, v15
	v_add_f16_e32 v15, v9, v10
	v_sub_f16_e32 v20, v9, v10
	v_sub_f16_e32 v10, v10, v8
	;; [unrolled: 1-line block ×3, first 2 shown]
	v_mul_f16_e32 v11, 0x3a52, v11
	v_add_f16_e32 v8, v15, v8
	v_mul_f16_e32 v15, 0x2b26, v13
	v_add_f16_e32 v23, v38, v14
	v_mul_f16_e32 v20, 0x3846, v20
	v_mul_f16_e32 v24, 0xbb00, v10
	v_fmamk_f16 v13, v13, 0x2b26, v11
	v_fma_f16 v15, v12, 0x39e0, -v15
	v_fmamk_f16 v14, v14, 0xbcab, v23
	v_fma_f16 v11, v12, 0xb9e0, -v11
	v_fma_f16 v12, v9, 0x3574, -v24
	v_fmamk_f16 v9, v9, 0xb574, v20
	v_add_f16_e32 v3, v3, v33
	v_add_f16_e32 v5, v5, v32
	v_fma_f16 v10, v10, 0xbb00, -v20
	v_add_f16_e32 v11, v11, v14
	v_fmac_f16_e32 v12, 0xb70e, v8
	v_add_f16_e32 v13, v13, v14
	v_fmac_f16_e32 v9, 0xb70e, v8
	v_add_f16_e32 v6, v6, v7
	v_sub_f16_e32 v1, v1, v34
	v_add_f16_e32 v7, v5, v3
	v_sub_f16_e32 v2, v4, v2
	v_sub_f16_e32 v0, v0, v36
	v_add_f16_e32 v15, v15, v14
	v_fmac_f16_e32 v10, 0xb70e, v8
	v_sub_f16_e32 v14, v11, v12
	v_add_f16_e32 v11, v12, v11
	v_sub_f16_e32 v12, v13, v9
	v_add_f16_e32 v9, v9, v13
	v_sub_f16_e32 v4, v5, v3
	v_sub_f16_e32 v3, v3, v6
	;; [unrolled: 1-line block ×3, first 2 shown]
	v_add_f16_e32 v6, v6, v7
	v_add_f16_e32 v7, v2, v1
	v_sub_f16_e32 v13, v2, v1
	v_sub_f16_e32 v1, v1, v0
	v_add_f16_e32 v8, v10, v15
	v_sub_f16_e32 v10, v15, v10
	v_sub_f16_e32 v2, v0, v2
	v_add_f16_e32 v0, v7, v0
	v_mul_f16_e32 v7, 0x2b26, v5
	v_add_f16_e64 v15, v143, v6
	v_mul_f16_e32 v13, 0x3846, v13
	v_mul_f16_e32 v3, 0x3a52, v3
	;; [unrolled: 1-line block ×3, first 2 shown]
	v_fma_f16 v7, v4, 0x39e0, -v7
	v_fmamk_f16 v6, v6, 0xbcab, v15
	v_fma_f16 v1, v1, 0xbb00, -v13
	v_fmamk_f16 v5, v5, 0x2b26, v3
	v_fma_f16 v3, v4, 0xb9e0, -v3
	v_fma_f16 v4, v2, 0x3574, -v20
	v_fmamk_f16 v2, v2, 0xb574, v13
	v_add_f16_e32 v7, v7, v6
	v_fmac_f16_e32 v1, 0xb70e, v0
	v_add_f16_e32 v3, v3, v6
	v_fmac_f16_e32 v4, 0xb70e, v0
	;; [unrolled: 2-line block ×3, first 2 shown]
	v_add_f16_e32 v0, v1, v7
	v_sub_f16_e32 v1, v7, v1
	v_mul_lo_u16 v7, 0x4f, v61
	v_sub_f16_e32 v6, v3, v4
	v_add_f16_e32 v3, v4, v3
	v_sub_f16_e32 v4, v5, v2
	v_add_f16_e32 v2, v2, v5
	ds_store_b16 v159, v25
	ds_store_b16 v159, v22 offset:14
	ds_store_b16 v159, v19 offset:28
	;; [unrolled: 1-line block ×6, first 2 shown]
	ds_store_b16 v160, v23
	ds_store_b16 v160, v12 offset:14
	ds_store_b16 v160, v14 offset:28
	;; [unrolled: 1-line block ×6, first 2 shown]
	v_mul_u32_u24_e32 v5, 6, v46
	ds_store_b16 v142, v15
	ds_store_b16 v142, v4 offset:14
	ds_store_b16 v142, v6 offset:28
	;; [unrolled: 1-line block ×6, first 2 shown]
	v_lshrrev_b16 v4, 8, v7
	global_wb scope:SCOPE_SE
	s_wait_dscnt 0x0
	s_barrier_signal -1
	v_lshlrev_b32_e32 v40, 2, v5
	s_barrier_wait -1
	v_sub_nc_u16 v5, v48, v4
	global_inv scope:SCOPE_SE
	v_mul_u32_u24_e32 v11, 0x4e5f, v64
	global_load_b128 v[0:3], v40, s[8:9] offset:168
	v_lshrrev_b16 v5, 1, v5
	v_lshrrev_b32_e32 v12, 16, v11
	s_delay_alu instid0(VALU_DEP_2) | instskip(NEXT) | instid1(VALU_DEP_1)
	v_and_b32_e32 v5, 0x7f, v5
	v_add_nc_u16 v4, v5, v4
	v_mul_lo_u16 v5, 0x4f, v62
	s_delay_alu instid0(VALU_DEP_2) | instskip(NEXT) | instid1(VALU_DEP_2)
	v_lshrrev_b16 v4, 5, v4
	v_lshrrev_b16 v5, 8, v5
	s_delay_alu instid0(VALU_DEP_2) | instskip(NEXT) | instid1(VALU_DEP_2)
	v_mul_lo_u16 v4, v4, 49
	v_sub_nc_u16 v6, v49, v5
	s_delay_alu instid0(VALU_DEP_2) | instskip(NEXT) | instid1(VALU_DEP_2)
	v_sub_nc_u16 v4, v48, v4
	v_lshrrev_b16 v6, 1, v6
	s_delay_alu instid0(VALU_DEP_2) | instskip(NEXT) | instid1(VALU_DEP_2)
	v_and_b32_e32 v61, 0xff, v4
	v_and_b32_e32 v4, 0x7f, v6
	v_mul_lo_u16 v6, 0x4f, v63
	s_delay_alu instid0(VALU_DEP_3) | instskip(NEXT) | instid1(VALU_DEP_3)
	v_mul_u32_u24_e32 v7, 6, v61
	v_add_nc_u16 v4, v4, v5
	s_delay_alu instid0(VALU_DEP_3) | instskip(NEXT) | instid1(VALU_DEP_3)
	v_lshrrev_b16 v8, 8, v6
	v_lshlrev_b32_e32 v24, 2, v7
	s_delay_alu instid0(VALU_DEP_3) | instskip(NEXT) | instid1(VALU_DEP_3)
	v_lshrrev_b16 v9, 5, v4
	v_sub_nc_u16 v10, v50, v8
	global_load_b128 v[4:7], v24, s[8:9] offset:168
	v_mul_lo_u16 v9, v9, 49
	v_lshrrev_b16 v10, 1, v10
	s_delay_alu instid0(VALU_DEP_2) | instskip(NEXT) | instid1(VALU_DEP_2)
	v_sub_nc_u16 v9, v49, v9
	v_and_b32_e32 v10, 0x7f, v10
	s_delay_alu instid0(VALU_DEP_2) | instskip(NEXT) | instid1(VALU_DEP_2)
	v_and_b32_e32 v62, 0xff, v9
	v_add_nc_u16 v8, v10, v8
	v_sub_nc_u16 v10, v53, v12
	s_delay_alu instid0(VALU_DEP_3) | instskip(NEXT) | instid1(VALU_DEP_3)
	v_mul_u32_u24_e32 v9, 6, v62
	v_lshrrev_b16 v8, 5, v8
	s_delay_alu instid0(VALU_DEP_3) | instskip(NEXT) | instid1(VALU_DEP_3)
	v_lshrrev_b16 v14, 1, v10
	v_lshlrev_b32_e32 v25, 2, v9
	s_delay_alu instid0(VALU_DEP_3) | instskip(NEXT) | instid1(VALU_DEP_3)
	v_mul_lo_u16 v13, v8, 49
	v_add_nc_u16 v12, v14, v12
	v_mul_u32_u24_e32 v14, 0x4e5f, v65
	global_load_b128 v[8:11], v25, s[8:9] offset:168
	v_sub_nc_u16 v13, v50, v13
	v_lshrrev_b16 v12, 5, v12
	s_delay_alu instid0(VALU_DEP_2) | instskip(SKIP_1) | instid1(VALU_DEP_3)
	v_and_b32_e32 v65, 0xff, v13
	v_lshrrev_b32_e32 v13, 16, v14
	v_mul_lo_u16 v12, v12, 49
	s_delay_alu instid0(VALU_DEP_3) | instskip(NEXT) | instid1(VALU_DEP_3)
	v_mul_u32_u24_e32 v14, 6, v65
	v_sub_nc_u16 v15, v51, v13
	s_delay_alu instid0(VALU_DEP_3) | instskip(NEXT) | instid1(VALU_DEP_3)
	v_sub_nc_u16 v12, v53, v12
	v_lshlrev_b32_e32 v26, 2, v14
	s_delay_alu instid0(VALU_DEP_3) | instskip(NEXT) | instid1(VALU_DEP_3)
	v_lshrrev_b16 v14, 1, v15
	v_and_b32_e32 v64, 0xffff, v12
	global_load_b128 v[20:23], v26, s[8:9] offset:168
	v_add_nc_u16 v12, v14, v13
	v_mul_u32_u24_e32 v13, 6, v64
	v_lshl_add_u32 v147, v64, 1, 0
	s_delay_alu instid0(VALU_DEP_3) | instskip(NEXT) | instid1(VALU_DEP_3)
	v_lshrrev_b16 v12, 5, v12
	v_lshlrev_b32_e32 v27, 2, v13
	s_delay_alu instid0(VALU_DEP_2) | instskip(SKIP_2) | instid1(VALU_DEP_1)
	v_mul_lo_u16 v16, v12, 49
	global_load_b128 v[12:15], v27, s[8:9] offset:168
	v_sub_nc_u16 v16, v51, v16
	v_and_b32_e32 v63, 0xffff, v16
	s_delay_alu instid0(VALU_DEP_1) | instskip(SKIP_1) | instid1(VALU_DEP_2)
	v_mul_u32_u24_e32 v16, 6, v63
	v_lshl_add_u32 v148, v63, 1, 0
	v_lshlrev_b32_e32 v106, 2, v16
	s_clause 0x6
	global_load_b128 v[16:19], v106, s[8:9] offset:168
	global_load_b64 v[38:39], v40, s[8:9] offset:184
	global_load_b64 v[36:37], v24, s[8:9] offset:184
	;; [unrolled: 1-line block ×6, first 2 shown]
	ds_load_u16 v113, v52 offset:686
	ds_load_u16 v114, v52 offset:1372
	;; [unrolled: 1-line block ×9, first 2 shown]
	ds_load_u16 v120, v52
	ds_load_u16 v121, v52 offset:2744
	ds_load_u16 v123, v52 offset:1470
	;; [unrolled: 1-line block ×10, first 2 shown]
	s_wait_loadcnt 0xb
	v_lshrrev_b32_e32 v115, 16, v0
	v_lshrrev_b32_e32 v122, 16, v1
	;; [unrolled: 1-line block ×3, first 2 shown]
	s_wait_dscnt 0x13
	s_delay_alu instid0(VALU_DEP_3)
	v_mul_f16_e32 v127, v113, v115
	s_wait_dscnt 0x12
	v_mul_f16_e64 v132, v114, v122
	s_wait_dscnt 0x11
	v_mul_f16_e64 v134, v116, v124
	v_mul_f16_e32 v126, v109, v124
	s_wait_dscnt 0x10
	v_mul_f16_e64 v139, v117, v115
	v_fmac_f16_e32 v127, v112, v0
	v_mul_f16_e32 v112, v112, v115
	v_fmac_f16_e64 v132, v104, v1
	v_fmac_f16_e64 v134, v109, v2
	v_mul_f16_e32 v109, v107, v115
	s_wait_dscnt 0x8
	v_mul_f16_e64 v140, v123, v122
	v_fma_f16 v133, v113, v0, -v112
	v_lshrrev_b32_e32 v113, 16, v3
	v_mul_f16_e32 v112, v104, v122
	v_fmac_f16_e64 v139, v107, v0
	v_fma_f16 v141, v117, v0, -v109
	v_fmac_f16_e64 v140, v102, v1
	v_mul_f16_e64 v138, v121, v113
	v_mul_f16_e32 v104, v110, v113
	s_wait_dscnt 0x0
	v_mul_f16_e64 v142, v137, v124
	v_mul_f16_e32 v109, v101, v124
	v_fma_f16 v114, v114, v1, -v112
	v_fmac_f16_e64 v138, v110, v3
	v_mul_f16_e32 v110, v102, v122
	v_fma_f16 v115, v121, v3, -v104
	ds_load_u16 v0, v52 offset:2254
	ds_load_u16 v102, v52 offset:2352
	;; [unrolled: 1-line block ×4, first 2 shown]
	v_fma_f16 v116, v116, v2, -v126
	v_mul_f16_e64 v144, v135, v113
	v_fma_f16 v143, v123, v1, -v110
	v_fmac_f16_e64 v142, v101, v2
	v_fma_f16 v145, v137, v2, -v109
	v_mul_f16_e32 v2, v105, v113
	ds_load_u16 v101, v52 offset:2940
	v_fmac_f16_e64 v144, v105, v3
	v_fma_f16 v135, v135, v3, -v2
	s_wait_loadcnt 0xa
	v_lshrrev_b32_e32 v1, 16, v4
	v_lshrrev_b32_e32 v105, 16, v5
	;; [unrolled: 1-line block ×3, first 2 shown]
	s_delay_alu instid0(VALU_DEP_3) | instskip(SKIP_1) | instid1(VALU_DEP_4)
	v_mul_f16_e32 v121, v118, v1
	v_mul_f16_e32 v1, v103, v1
	;; [unrolled: 1-line block ×4, first 2 shown]
	s_wait_dscnt 0x4
	v_mul_f16_e32 v113, v0, v2
	v_mul_f16_e32 v2, v97, v2
	v_fma_f16 v124, v118, v4, -v1
	v_lshrrev_b32_e32 v1, 16, v7
	v_fmac_f16_e32 v122, v99, v5
	v_fma_f16 v123, v125, v5, -v3
	v_fma_f16 v125, v0, v6, -v2
	v_fmac_f16_e32 v121, v103, v4
	v_mul_f16_e32 v0, v98, v1
	ds_load_u16 v105, v52 offset:3626
	ds_load_u16 v3, v52 offset:3038
	;; [unrolled: 1-line block ×7, first 2 shown]
	s_wait_dscnt 0x7
	v_mul_f16_e32 v126, v101, v1
	v_fmac_f16_e32 v113, v97, v6
	v_fma_f16 v146, v101, v7, -v0
	s_delay_alu instid0(VALU_DEP_3) | instskip(SKIP_4) | instid1(VALU_DEP_3)
	v_fmac_f16_e32 v126, v98, v7
	s_wait_loadcnt 0x9
	v_lshrrev_b32_e32 v99, 16, v8
	v_lshrrev_b32_e32 v1, 16, v9
	;; [unrolled: 1-line block ×3, first 2 shown]
	v_mul_f16_e32 v2, v100, v99
	v_mul_f16_e32 v97, v119, v99
	s_delay_alu instid0(VALU_DEP_4)
	v_mul_f16_e64 v98, v128, v1
	v_mul_f16_e32 v1, v93, v1
	v_mul_f16_e32 v99, v102, v0
	v_fma_f16 v103, v119, v8, -v2
	v_lshrrev_b32_e32 v2, 16, v11
	v_mul_f16_e32 v0, v95, v0
	v_fma_f16 v101, v128, v9, -v1
	v_fmac_f16_e32 v97, v100, v8
	v_fmac_f16_e32 v98, v93, v9
	s_wait_dscnt 0x5
	v_mul_f16_e32 v100, v3, v2
	v_fma_f16 v102, v102, v10, -v0
	v_mul_f16_e32 v0, v94, v2
	v_fmac_f16_e32 v99, v95, v10
	s_wait_loadcnt 0x8
	v_lshrrev_b32_e32 v1, 16, v20
	v_lshrrev_b32_e32 v2, 16, v21
	v_fma_f16 v137, v3, v11, -v0
	v_lshrrev_b32_e32 v0, 16, v22
	v_fmac_f16_e32 v100, v94, v11
	v_mul_f16_e32 v93, v111, v1
	v_mul_f16_e32 v1, v96, v1
	v_mul_f16_e64 v94, v129, v2
	s_delay_alu instid0(VALU_DEP_3) | instskip(NEXT) | instid1(VALU_DEP_3)
	v_fmac_f16_e32 v93, v96, v20
	v_fma_f16 v95, v111, v20, -v1
	v_mul_f16_e32 v1, v90, v2
	v_mul_f16_e32 v20, v104, v0
	v_lshrrev_b32_e32 v2, 16, v23
	v_mul_f16_e32 v0, v91, v0
	v_fmac_f16_e32 v94, v90, v21
	v_fma_f16 v90, v129, v21, -v1
	s_wait_loadcnt 0x7
	v_lshrrev_b32_e32 v1, 16, v12
	v_fmac_f16_e32 v20, v91, v22
	s_wait_dscnt 0x4
	v_mul_f16_e32 v21, v4, v2
	v_fma_f16 v22, v104, v22, -v0
	v_mul_f16_e32 v0, v89, v2
	v_mul_f16_e32 v8, v108, v1
	v_lshrrev_b32_e32 v2, 16, v13
	v_fmac_f16_e32 v21, v89, v23
	v_mul_f16_e32 v1, v92, v1
	v_fma_f16 v23, v4, v23, -v0
	v_lshrrev_b32_e32 v0, 16, v14
	v_fmac_f16_e32 v8, v92, v12
	v_mul_f16_e64 v9, v130, v2
	v_fma_f16 v12, v108, v12, -v1
	v_mul_f16_e32 v1, v85, v2
	v_lshrrev_b32_e32 v2, 16, v15
	v_mul_f16_e32 v10, v107, v0
	v_fmac_f16_e32 v9, v85, v13
	v_mul_f16_e32 v0, v83, v0
	v_fma_f16 v13, v130, v13, -v1
	s_wait_loadcnt 0x6
	v_lshrrev_b32_e32 v1, 16, v16
	s_wait_dscnt 0x3
	v_mul_f16_e32 v11, v5, v2
	v_fmac_f16_e32 v10, v83, v14
	v_mul_f16_e32 v2, v84, v2
	v_lshrrev_b32_e32 v3, 16, v17
	ds_load_u16 v83, v52 offset:4116
	v_fma_f16 v14, v107, v14, -v0
	v_mul_f16_e32 v0, v106, v1
	v_fmac_f16_e32 v11, v84, v15
	v_fma_f16 v15, v5, v15, -v2
	v_mul_f16_e32 v2, v88, v1
	v_mul_f16_e64 v1, v131, v3
	v_mul_f16_e32 v5, v87, v3
	v_lshrrev_b32_e32 v4, 16, v18
	v_lshrrev_b32_e32 v7, 16, v19
	v_fma_f16 v3, v106, v16, -v2
	v_fmac_f16_e32 v1, v87, v17
	v_fma_f16 v5, v131, v17, -v5
	ds_load_u16 v17, v52 offset:4214
	v_mul_f16_e64 v2, v136, v4
	v_mul_f16_e32 v4, v86, v4
	s_wait_loadcnt 0x5
	v_lshrrev_b32_e32 v85, 16, v39
	v_fmac_f16_e32 v0, v88, v16
	v_lshrrev_b32_e32 v16, 16, v38
	v_fmac_f16_e32 v2, v86, v18
	v_fma_f16 v6, v136, v18, -v4
	s_wait_dscnt 0x4
	v_mul_f16_e32 v4, v109, v7
	v_mul_f16_e32 v7, v82, v7
	s_wait_dscnt 0x1
	v_mul_f16_e32 v88, v83, v85
	v_mul_f16_e32 v84, v112, v16
	;; [unrolled: 1-line block ×3, first 2 shown]
	v_fmac_f16_e32 v4, v82, v19
	ds_load_u16 v82, v52 offset:4312
	ds_load_u16 v86, v52 offset:4410
	;; [unrolled: 1-line block ×3, first 2 shown]
	v_fma_f16 v7, v109, v19, -v7
	v_mul_f16_e32 v19, v81, v85
	v_fmac_f16_e32 v88, v81, v39
	v_mul_f16_e32 v81, v110, v16
	v_mul_f16_e32 v16, v79, v16
	v_fmac_f16_e32 v84, v80, v38
	v_fma_f16 v80, v112, v38, -v18
	ds_load_u16 v18, v52 offset:3724
	s_wait_dscnt 0x4
	v_mul_f16_e32 v89, v17, v85
	v_fmac_f16_e32 v81, v79, v38
	v_fma_f16 v79, v110, v38, -v16
	s_wait_loadcnt 0x4
	v_lshrrev_b32_e32 v16, 16, v36
	v_fma_f16 v83, v83, v39, -v19
	v_mul_f16_e32 v19, v78, v85
	v_fmac_f16_e32 v89, v78, v39
	ds_load_u16 v78, v52 offset:3822
	v_lshrrev_b32_e32 v38, 16, v37
	v_mul_f16_e32 v85, v105, v16
	v_mul_f16_e32 v16, v74, v16
	v_fma_f16 v39, v17, v39, -v19
	v_add_f16_e64 v136, v102, v137
	s_wait_dscnt 0x4
	v_mul_f16_e32 v91, v82, v38
	v_mul_f16_e32 v17, v75, v38
	v_fma_f16 v92, v105, v36, -v16
	s_wait_loadcnt 0x3
	v_lshrrev_b32_e32 v16, 16, v35
	v_lshrrev_b32_e32 v38, 16, v34
	v_fmac_f16_e32 v85, v74, v36
	ds_load_u16 v36, v52 offset:3920
	v_fmac_f16_e32 v91, v75, v37
	v_fma_f16 v75, v82, v37, -v17
	ds_load_u16 v37, v52 offset:4508
	s_wait_dscnt 0x5
	v_mul_f16_e32 v104, v86, v16
	v_mul_f16_e32 v17, v77, v38
	;; [unrolled: 1-line block ×3, first 2 shown]
	s_delay_alu instid0(VALU_DEP_3)
	v_fmac_f16_e32 v104, v73, v35
	ds_load_u16 v73, v52 offset:4704
	s_wait_dscnt 0x4
	v_mul_f16_e32 v19, v18, v38
	s_wait_loadcnt 0x2
	v_lshrrev_b32_e32 v38, 16, v32
	v_fma_f16 v74, v18, v34, -v17
	s_delay_alu instid0(VALU_DEP_3) | instskip(SKIP_1) | instid1(VALU_DEP_3)
	v_fmac_f16_e32 v19, v77, v34
	s_wait_dscnt 0x3
	v_mul_f16_e32 v18, v78, v38
	v_mul_f16_e32 v34, v76, v38
	ds_load_u16 v38, v52 offset:4606
	v_fma_f16 v77, v86, v35, -v16
	v_lshrrev_b32_e32 v35, 16, v33
	v_fmac_f16_e32 v18, v76, v32
	s_wait_loadcnt 0x1
	v_lshrrev_b32_e32 v76, 16, v26
	v_fma_f16 v111, v78, v32, -v34
	v_lshrrev_b32_e32 v34, 16, v27
	v_mul_f16_e32 v32, v70, v35
	s_wait_dscnt 0x2
	v_mul_f16_e32 v110, v37, v35
	v_mul_f16_e32 v107, v36, v76
	;; [unrolled: 1-line block ×3, first 2 shown]
	ds_load_u16 v105, v57
	ds_load_u16 v17, v58
	;; [unrolled: 1-line block ×5, first 2 shown]
	v_fma_f16 v112, v37, v33, -v32
	s_wait_loadcnt 0x0
	v_lshrrev_b32_e32 v32, 16, v24
	v_fmac_f16_e32 v110, v70, v33
	v_fmac_f16_e32 v107, v69, v26
	v_fma_f16 v109, v36, v26, -v35
	v_lshrrev_b32_e32 v33, 16, v25
	v_mul_f16_e32 v26, v87, v32
	v_mul_f16_e32 v32, v71, v32
	s_wait_dscnt 0x5
	v_mul_f16_e32 v108, v38, v34
	v_mul_f16_e32 v34, v68, v34
	;; [unrolled: 1-line block ×3, first 2 shown]
	v_fmac_f16_e32 v26, v71, v24
	v_fma_f16 v24, v87, v24, -v32
	v_add_f16_e32 v32, v127, v88
	v_add_f16_e64 v36, v132, v84
	v_fmac_f16_e32 v108, v68, v27
	v_mul_f16_e32 v33, v72, v33
	v_fma_f16 v27, v38, v27, -v34
	v_fmac_f16_e32 v106, v72, v25
	v_add_f16_e64 v34, v133, v83
	v_sub_f16_e64 v37, v132, v84
	v_add_f16_e32 v38, v114, v80
	v_add_f16_e64 v69, v134, v138
	v_sub_f16_e64 v70, v138, v134
	v_add_f16_e32 v72, v36, v32
	v_fma_f16 v25, v73, v25, -v33
	v_sub_f16_e32 v33, v127, v88
	v_sub_f16_e32 v68, v114, v80
	v_add_f16_e32 v71, v116, v115
	v_sub_f16_e32 v73, v115, v116
	v_sub_f16_e32 v76, v36, v32
	;; [unrolled: 1-line block ×4, first 2 shown]
	v_add_f16_e32 v69, v69, v72
	v_add_f16_e32 v72, v38, v34
	;; [unrolled: 1-line block ×3, first 2 shown]
	v_sub_f16_e64 v35, v133, v83
	v_sub_f16_e32 v78, v38, v34
	v_sub_f16_e32 v34, v34, v71
	;; [unrolled: 1-line block ×3, first 2 shown]
	v_add_f16_e32 v71, v71, v72
	v_sub_f16_e32 v72, v70, v37
	v_sub_f16_e32 v70, v33, v70
	;; [unrolled: 1-line block ×3, first 2 shown]
	v_add_f16_e32 v33, v80, v33
	v_add_f16_e32 v80, v73, v68
	v_mul_f16_e32 v32, 0x3a52, v32
	v_mul_f16_e32 v84, 0x2b26, v36
	v_sub_f16_e32 v83, v73, v68
	v_sub_f16_e32 v73, v35, v73
	v_sub_f16_e32 v68, v68, v35
	v_add_f16_e32 v35, v80, v35
	v_fmamk_f16 v36, v36, 0x2b26, v32
	v_mul_f16_e32 v34, 0x3a52, v34
	v_mul_f16_e32 v80, 0x2b26, v38
	v_fma_f16 v84, v76, 0x39e0, -v84
	v_fma_f16 v76, v76, 0xb9e0, -v32
	v_mul_f16_e32 v32, 0x3846, v72
	v_fmamk_f16 v38, v38, 0x2b26, v34
	v_fma_f16 v72, v78, 0x39e0, -v80
	v_fma_f16 v34, v78, 0xb9e0, -v34
	v_mul_f16_e32 v78, 0xbb00, v37
	v_fma_f16 v37, v37, 0xbb00, -v32
	v_fmamk_f16 v80, v70, 0xb574, v32
	v_add_f16_e32 v32, v67, v69
	v_mul_f16_e32 v67, 0x3846, v83
	v_add_f16_e32 v114, v120, v71
	v_fma_f16 v70, v70, 0x3574, -v78
	v_mul_f16_e32 v78, 0xbb00, v68
	v_fmamk_f16 v69, v69, 0xbcab, v32
	v_fma_f16 v68, v68, 0xbb00, -v67
	v_fmamk_f16 v67, v73, 0xb574, v67
	v_fmamk_f16 v71, v71, 0xbcab, v114
	v_fma_f16 v73, v73, 0x3574, -v78
	v_add_f16_e32 v78, v36, v69
	v_add_f16_e32 v36, v84, v69
	v_add_f16_e32 v69, v76, v69
	v_add_f16_e32 v76, v38, v71
	v_add_f16_e32 v38, v72, v71
	v_add_f16_e32 v71, v34, v71
	v_fmac_f16_e32 v37, 0xb70e, v33
	v_fmac_f16_e32 v70, 0xb70e, v33
	;; [unrolled: 1-line block ×6, first 2 shown]
	v_add_f16_e32 v115, v37, v38
	v_sub_f16_e32 v116, v38, v37
	v_sub_f16_e32 v118, v71, v70
	v_add_f16_e32 v117, v70, v71
	v_add_f16_e32 v38, v67, v78
	v_sub_f16_e32 v37, v78, v67
	v_add_f16_e64 v67, v139, v89
	v_add_f16_e64 v70, v140, v81
	v_sub_f16_e32 v33, v36, v68
	v_add_f16_e32 v34, v68, v36
	v_add_f16_e32 v36, v73, v69
	v_sub_f16_e32 v35, v69, v73
	v_sub_f16_e32 v120, v76, v80
	v_add_f16_e32 v119, v80, v76
	v_add_f16_e64 v69, v141, v39
	v_sub_f16_e64 v71, v140, v81
	v_add_f16_e64 v72, v143, v79
	v_add_f16_e64 v76, v142, v144
	v_sub_f16_e64 v78, v144, v142
	v_add_f16_e32 v80, v70, v67
	v_sub_f16_e64 v68, v139, v89
	v_sub_f16_e64 v73, v143, v79
	v_add_f16_e64 v79, v145, v135
	v_sub_f16_e64 v81, v135, v145
	v_sub_f16_e32 v83, v70, v67
	v_sub_f16_e32 v67, v67, v76
	v_sub_f16_e32 v70, v76, v70
	v_add_f16_e32 v76, v76, v80
	v_add_f16_e32 v80, v72, v69
	;; [unrolled: 1-line block ×3, first 2 shown]
	v_sub_f16_e64 v39, v141, v39
	v_sub_f16_e32 v84, v72, v69
	v_sub_f16_e32 v69, v69, v79
	;; [unrolled: 1-line block ×3, first 2 shown]
	v_add_f16_e32 v79, v79, v80
	v_sub_f16_e32 v80, v78, v71
	v_sub_f16_e32 v78, v68, v78
	;; [unrolled: 1-line block ×3, first 2 shown]
	v_add_f16_e32 v68, v87, v68
	v_add_f16_e32 v87, v81, v73
	v_sub_f16_e32 v88, v81, v73
	v_mul_f16_e32 v67, 0x3a52, v67
	v_sub_f16_e32 v81, v39, v81
	v_sub_f16_e32 v73, v73, v39
	v_mul_f16_e32 v89, 0x2b26, v70
	v_add_f16_e32 v87, v87, v39
	v_mul_f16_e32 v39, 0x3a52, v69
	v_mul_f16_e32 v69, 0x2b26, v72
	v_fmamk_f16 v70, v70, 0x2b26, v67
	v_fma_f16 v89, v83, 0x39e0, -v89
	v_fma_f16 v67, v83, 0xb9e0, -v67
	v_mul_f16_e32 v80, 0x3846, v80
	v_fmamk_f16 v72, v72, 0x2b26, v39
	v_fma_f16 v69, v84, 0x39e0, -v69
	v_fma_f16 v83, v84, 0xb9e0, -v39
	v_mul_f16_e32 v84, 0xbb00, v71
	v_add_f16_e32 v39, v66, v76
	v_mul_f16_e32 v66, 0x3846, v88
	s_wait_dscnt 0x0
	v_add_f16_e32 v127, v86, v79
	v_fma_f16 v71, v71, 0xbb00, -v80
	v_fmamk_f16 v80, v78, 0xb574, v80
	v_fma_f16 v78, v78, 0x3574, -v84
	v_mul_f16_e32 v84, 0xbb00, v73
	v_fma_f16 v73, v73, 0xbb00, -v66
	v_fmamk_f16 v86, v81, 0xb574, v66
	v_fmamk_f16 v66, v79, 0xbcab, v127
	;; [unrolled: 1-line block ×3, first 2 shown]
	v_fma_f16 v79, v81, 0x3574, -v84
	v_fmac_f16_e32 v80, 0xb70e, v68
	v_fmac_f16_e32 v78, 0xb70e, v68
	v_add_f16_e32 v72, v72, v66
	v_add_f16_e32 v83, v83, v66
	;; [unrolled: 1-line block ×6, first 2 shown]
	v_fmac_f16_e32 v71, 0xb70e, v68
	v_fmac_f16_e32 v86, 0xb70e, v87
	;; [unrolled: 1-line block ×3, first 2 shown]
	v_sub_f16_e64 v131, v83, v78
	v_add_f16_e64 v130, v78, v83
	v_sub_f16_e64 v133, v72, v80
	v_add_f16_e64 v132, v80, v72
	v_add_f16_e32 v72, v121, v91
	v_add_f16_e32 v78, v122, v85
	v_fmac_f16_e32 v73, 0xb70e, v87
	v_add_f16_e64 v128, v71, v69
	v_sub_f16_e64 v129, v69, v71
	v_add_f16_e32 v69, v79, v76
	v_sub_f16_e32 v68, v76, v79
	v_add_f16_e32 v71, v86, v70
	v_sub_f16_e32 v70, v70, v86
	;; [unrolled: 2-line block ×3, first 2 shown]
	v_add_f16_e32 v80, v123, v92
	v_add_f16_e32 v83, v113, v126
	v_sub_f16_e32 v84, v126, v113
	v_add_f16_e32 v86, v78, v72
	v_sub_f16_e32 v66, v81, v73
	;; [unrolled: 2-line block ×3, first 2 shown]
	v_sub_f16_e32 v81, v123, v92
	v_add_f16_e64 v85, v125, v146
	v_sub_f16_e64 v87, v146, v125
	v_sub_f16_e32 v88, v78, v72
	v_sub_f16_e32 v72, v72, v83
	;; [unrolled: 1-line block ×3, first 2 shown]
	v_add_f16_e32 v83, v83, v86
	v_add_f16_e32 v86, v80, v76
	;; [unrolled: 1-line block ×3, first 2 shown]
	v_sub_f16_e32 v75, v124, v75
	v_sub_f16_e32 v89, v80, v76
	;; [unrolled: 1-line block ×4, first 2 shown]
	v_add_f16_e32 v85, v85, v86
	v_sub_f16_e32 v86, v84, v79
	v_sub_f16_e32 v84, v73, v84
	;; [unrolled: 1-line block ×3, first 2 shown]
	v_add_f16_e32 v73, v91, v73
	v_add_f16_e32 v91, v87, v81
	v_sub_f16_e32 v92, v87, v81
	v_mul_f16_e32 v72, 0x3a52, v72
	v_sub_f16_e32 v87, v75, v87
	v_sub_f16_e32 v81, v81, v75
	v_mul_f16_e32 v96, 0x2b26, v78
	v_add_f16_e32 v75, v91, v75
	v_mul_f16_e32 v91, 0x2b26, v80
	v_fmamk_f16 v78, v78, 0x2b26, v72
	v_mul_f16_e32 v76, 0x3a52, v76
	v_fma_f16 v96, v88, 0x39e0, -v96
	v_fma_f16 v72, v88, 0xb9e0, -v72
	v_mul_f16_e32 v86, 0x3846, v86
	v_fma_f16 v88, v89, 0x39e0, -v91
	v_add_f16_e32 v45, v45, v83
	v_mul_f16_e32 v91, 0x3846, v92
	v_add_f16_e32 v113, v82, v85
	v_fmamk_f16 v80, v80, 0x2b26, v76
	v_fma_f16 v76, v89, 0xb9e0, -v76
	v_mul_f16_e32 v89, 0xbb00, v79
	v_fma_f16 v79, v79, 0xbb00, -v86
	v_fmamk_f16 v86, v84, 0xb574, v86
	v_mul_f16_e32 v82, 0xbb00, v81
	v_fmamk_f16 v83, v83, 0xbcab, v45
	v_fma_f16 v81, v81, 0xbb00, -v91
	v_fmamk_f16 v85, v85, 0xbcab, v113
	v_fma_f16 v84, v84, 0x3574, -v89
	;; [unrolled: 2-line block ×3, first 2 shown]
	v_add_f16_e32 v87, v96, v83
	v_add_f16_e32 v80, v80, v85
	v_fmac_f16_e32 v86, 0xb70e, v73
	v_fmac_f16_e32 v81, 0xb70e, v75
	v_add_f16_e32 v78, v78, v83
	v_add_f16_e32 v83, v72, v83
	;; [unrolled: 1-line block ×4, first 2 shown]
	v_fmac_f16_e32 v79, 0xb70e, v73
	v_fmac_f16_e32 v84, 0xb70e, v73
	;; [unrolled: 1-line block ×3, first 2 shown]
	v_sub_f16_e32 v72, v87, v81
	v_add_f16_e32 v73, v81, v87
	v_sub_f16_e32 v126, v80, v86
	v_add_f16_e32 v125, v86, v80
	v_add_f16_e32 v80, v97, v104
	;; [unrolled: 1-line block ×3, first 2 shown]
	v_fmac_f16_e32 v89, 0xb70e, v75
	v_add_f16_e32 v76, v82, v83
	v_sub_f16_e32 v75, v83, v82
	v_sub_f16_e32 v124, v85, v84
	v_add_f16_e32 v123, v84, v85
	v_add_f16_e64 v135, v101, v74
	v_sub_f16_e32 v74, v101, v74
	v_add_f16_e32 v82, v99, v100
	v_add_f16_e32 v83, v81, v80
	v_sub_f16_e64 v84, v137, v102
	v_add_f16_e64 v134, v103, v77
	v_sub_f16_e32 v77, v103, v77
	v_sub_f16_e32 v85, v81, v80
	;; [unrolled: 1-line block ×4, first 2 shown]
	v_add_f16_e32 v82, v82, v83
	v_add_f16_e32 v83, v84, v74
	v_sub_f16_e32 v86, v84, v74
	v_sub_f16_e32 v84, v77, v84
	;; [unrolled: 1-line block ×3, first 2 shown]
	v_add_f16_e32 v44, v44, v82
	v_add_f16_e32 v77, v83, v77
	v_mul_f16_e32 v83, 0x2b26, v81
	v_mul_f16_e32 v86, 0x3846, v86
	;; [unrolled: 1-line block ×4, first 2 shown]
	v_fmamk_f16 v82, v82, 0xbcab, v44
	v_fma_f16 v83, v85, 0x39e0, -v83
	v_fma_f16 v74, v74, 0xbb00, -v86
	v_fmamk_f16 v81, v81, 0x2b26, v80
	v_fma_f16 v80, v85, 0xb9e0, -v80
	v_fma_f16 v85, v84, 0x3574, -v87
	v_fmamk_f16 v84, v84, 0xb574, v86
	v_add_f16_e32 v83, v83, v82
	v_fmac_f16_e32 v74, 0xb70e, v77
	v_add_f16_e32 v80, v80, v82
	v_fmac_f16_e32 v85, 0xb70e, v77
	;; [unrolled: 2-line block ×3, first 2 shown]
	v_sub_f16_e32 v77, v83, v74
	v_add_f16_e32 v74, v74, v83
	v_add_f16_e32 v83, v93, v110
	v_add_f16_e32 v86, v94, v18
	v_add_f16_e32 v121, v79, v88
	v_sub_f16_e32 v122, v88, v79
	v_add_f16_e32 v79, v89, v78
	v_sub_f16_e32 v78, v78, v89
	v_add_f16_e32 v82, v85, v80
	;; [unrolled: 2-line block ×4, first 2 shown]
	v_add_f16_e32 v87, v86, v83
	v_sub_f16_e32 v89, v90, v111
	v_sub_f16_e32 v91, v23, v22
	;; [unrolled: 1-line block ×6, first 2 shown]
	v_add_f16_e32 v84, v84, v87
	v_add_f16_e32 v87, v91, v89
	v_sub_f16_e32 v96, v91, v89
	v_sub_f16_e32 v91, v92, v91
	;; [unrolled: 1-line block ×3, first 2 shown]
	v_add_f16_e32 v43, v43, v84
	v_add_f16_e32 v87, v87, v92
	v_mul_f16_e32 v92, 0x2b26, v86
	v_mul_f16_e32 v96, 0x3846, v96
	v_mul_f16_e32 v83, 0x3a52, v83
	v_mul_f16_e32 v101, 0xbb00, v89
	v_fmamk_f16 v84, v84, 0xbcab, v43
	v_fma_f16 v92, v88, 0x39e0, -v92
	v_fma_f16 v89, v89, 0xbb00, -v96
	v_fmamk_f16 v86, v86, 0x2b26, v83
	v_fma_f16 v83, v88, 0xb9e0, -v83
	v_fma_f16 v88, v91, 0x3574, -v101
	v_fmamk_f16 v91, v91, 0xb574, v96
	v_add_f16_e32 v92, v92, v84
	v_fmac_f16_e32 v89, 0xb70e, v87
	v_add_f16_e32 v83, v83, v84
	v_fmac_f16_e32 v88, 0xb70e, v87
	;; [unrolled: 2-line block ×3, first 2 shown]
	v_sub_f16_e32 v86, v92, v89
	v_add_f16_e32 v87, v89, v92
	v_add_f16_e32 v92, v8, v108
	;; [unrolled: 1-line block ×4, first 2 shown]
	v_sub_f16_e32 v83, v83, v88
	v_add_f16_e32 v88, v91, v84
	v_sub_f16_e32 v84, v84, v91
	v_add_f16_e32 v91, v10, v11
	v_add_f16_e32 v101, v96, v92
	v_sub_f16_e32 v103, v13, v109
	v_sub_f16_e64 v137, v15, v14
	v_sub_f16_e32 v102, v96, v92
	v_sub_f16_e32 v92, v92, v91
	v_sub_f16_e64 v138, v12, v27
	v_sub_f16_e32 v96, v91, v96
	v_add_f16_e32 v91, v91, v101
	v_add_f16_e64 v101, v137, v103
	v_sub_f16_e64 v139, v137, v103
	v_sub_f16_e64 v137, v138, v137
	v_sub_f16_e64 v103, v103, v138
	v_add_f16_e32 v42, v42, v91
	v_add_f16_e64 v101, v101, v138
	v_mul_f16_e64 v138, 0x2b26, v96
	v_mul_f16_e64 v139, 0x3846, v139
	v_mul_f16_e32 v92, 0x3a52, v92
	v_mul_f16_e64 v140, 0xbb00, v103
	v_fmamk_f16 v91, v91, 0xbcab, v42
	v_fma_f16 v138, v102, 0x39e0, -v138
	v_fma_f16 v103, v103, 0xbb00, -v139
	v_fmamk_f16 v96, v96, 0x2b26, v92
	v_fma_f16 v92, v102, 0xb9e0, -v92
	v_fma_f16 v102, v137, 0x3574, -v140
	v_fma_f16 v137, 0xb574, v137, v139
	v_add_f16_e64 v138, v138, v91
	v_fmac_f16_e32 v103, 0xb70e, v101
	v_add_f16_e32 v92, v92, v91
	v_fmac_f16_e32 v102, 0xb70e, v101
	v_add_f16_e32 v91, v96, v91
	v_fmac_f16_e64 v137, 0xb70e, v101
	v_sub_f16_e64 v96, v138, v103
	v_add_f16_e64 v101, v103, v138
	v_add_f16_e64 v138, v0, v106
	;; [unrolled: 1-line block ×3, first 2 shown]
	v_add_f16_e32 v103, v102, v92
	v_sub_f16_e32 v92, v92, v102
	v_add_f16_e64 v102, v137, v91
	v_sub_f16_e64 v91, v91, v137
	v_add_f16_e64 v137, v2, v4
	v_add_f16_e64 v140, v139, v138
	v_sub_f16_e64 v142, v5, v24
	v_sub_f16_e64 v143, v7, v6
	;; [unrolled: 1-line block ×6, first 2 shown]
	v_add_f16_e64 v137, v137, v140
	v_add_f16_e64 v140, v143, v142
	v_sub_f16_e64 v145, v143, v142
	v_sub_f16_e64 v142, v142, v144
	v_sub_f16_e64 v143, v144, v143
	v_add_f16_e64 v41, v41, v137
	v_add_f16_e64 v140, v140, v144
	v_mul_f16_e64 v144, 0x2b26, v139
	v_mul_f16_e64 v145, 0x3846, v145
	;; [unrolled: 1-line block ×4, first 2 shown]
	v_fma_f16 v137, 0xbcab, v137, v41
	v_fma_f16 v144, v141, 0x39e0, -v144
	v_fma_f16 v142, v142, 0xbb00, -v145
	v_fma_f16 v139, 0x2b26, v139, v138
	v_fma_f16 v138, v141, 0xb9e0, -v138
	v_fma_f16 v141, v143, 0x3574, -v146
	v_fma_f16 v143, 0xb574, v143, v145
	v_add_f16_e64 v144, v144, v137
	v_fmac_f16_e64 v142, 0xb70e, v140
	v_add_f16_e64 v138, v138, v137
	v_fmac_f16_e64 v141, 0xb70e, v140
	;; [unrolled: 2-line block ×3, first 2 shown]
	v_sub_f16_e64 v139, v144, v142
	v_add_f16_e64 v140, v142, v144
	v_lshl_add_u32 v144, v61, 1, 0
	v_lshl_add_u32 v145, v62, 1, 0
	;; [unrolled: 1-line block ×3, first 2 shown]
	v_add_f16_e64 v142, v141, v138
	v_sub_f16_e64 v138, v138, v141
	v_add_f16_e64 v141, v143, v137
	v_sub_f16_e64 v137, v137, v143
	ds_load_u16 v143, v60
	global_wb scope:SCOPE_SE
	s_wait_dscnt 0x0
	s_barrier_signal -1
	s_barrier_wait -1
	global_inv scope:SCOPE_SE
	ds_store_b16 v52, v32
	ds_store_b16 v52, v38 offset:98
	ds_store_b16 v52, v36 offset:196
	;; [unrolled: 1-line block ×48, first 2 shown]
	v_add_f16_e64 v137, v135, v134
	v_sub_f16_e32 v19, v98, v19
	v_sub_f16_e32 v98, v100, v99
	;; [unrolled: 1-line block ×3, first 2 shown]
	global_wb scope:SCOPE_SE
	s_wait_dscnt 0x0
	s_barrier_signal -1
	s_barrier_wait -1
	global_inv scope:SCOPE_SE
	ds_load_u16 v77, v60
	ds_load_u16 v61, v52 offset:3626
	ds_load_u16 v63, v52 offset:4312
	;; [unrolled: 1-line block ×3, first 2 shown]
	ds_load_u16 v68, v57
	ds_load_u16 v75, v58
	;; [unrolled: 1-line block ×3, first 2 shown]
	ds_load_u16 v33, v52 offset:1372
	ds_load_u16 v39, v52 offset:1470
	ds_load_u16 v64, v52 offset:1568
	ds_load_u16 v70, v52 offset:1666
	ds_load_u16 v78, v52 offset:1764
	ds_load_u16 v84, v52 offset:1862
	ds_load_u16 v42, v52 offset:2156
	ds_load_u16 v65, v52 offset:2254
	ds_load_u16 v71, v52 offset:2352
	ds_load_u16 v79, v52 offset:2450
	ds_load_u16 v85, v52 offset:2548
	ds_load_u16 v66, v52 offset:2940
	ds_load_u16 v72, v52 offset:3038
	ds_load_u16 v80, v52 offset:3136
	ds_load_u16 v86, v52 offset:3234
	ds_load_u16 v73, v52 offset:3724
	ds_load_u16 v81, v52 offset:3822
	ds_load_u16 v87, v52 offset:3920
	ds_load_u16 v82, v52 offset:4508
	ds_load_u16 v88, v52 offset:4606
	ds_load_u16 v32, v52
	ds_load_u16 v34, v52 offset:686
	ds_load_u16 v43, v52 offset:784
	;; [unrolled: 1-line block ×18, first 2 shown]
	ds_load_u16 v62, v56
	ds_load_u16 v41, v55
	ds_load_u16 v103, v52 offset:4704
	global_wb scope:SCOPE_SE
	s_wait_dscnt 0x0
	s_barrier_signal -1
	s_barrier_wait -1
	global_inv scope:SCOPE_SE
	ds_store_b16 v52, v114
	ds_store_b16 v52, v120 offset:98
	ds_store_b16 v52, v118 offset:196
	ds_store_b16 v52, v115 offset:294
	ds_store_b16 v52, v116 offset:392
	ds_store_b16 v52, v117 offset:490
	ds_store_b16 v52, v119 offset:588
	ds_store_b16 v52, v127 offset:686
	v_add_f16_e64 v114, v136, v137
	v_sub_f16_e64 v100, v134, v136
	v_sub_f16_e64 v104, v136, v135
	v_add_f16_e32 v115, v98, v19
	v_sub_f16_e32 v116, v98, v19
	v_sub_f16_e32 v19, v19, v97
	v_add_f16_e32 v105, v105, v114
	v_sub_f16_e64 v99, v135, v134
	v_sub_f16_e32 v98, v97, v98
	v_mul_f16_e32 v100, 0x3a52, v100
	v_mul_f16_e32 v117, 0x2b26, v104
	v_add_f16_e32 v97, v115, v97
	v_mul_f16_e32 v115, 0x3846, v116
	v_mul_f16_e32 v116, 0xbb00, v19
	v_add_f16_e32 v95, v95, v112
	v_add_f16_e32 v90, v90, v111
	v_fmamk_f16 v104, v104, 0x2b26, v100
	v_fma_f16 v117, v99, 0x39e0, -v117
	v_fmamk_f16 v114, v114, 0xbcab, v105
	v_fma_f16 v99, v99, 0xb9e0, -v100
	v_fma_f16 v100, v98, 0x3574, -v116
	v_fmamk_f16 v98, v98, 0xb574, v115
	v_sub_f16_e32 v93, v93, v110
	v_add_f16_e32 v22, v22, v23
	v_sub_f16_e32 v18, v94, v18
	v_add_f16_e32 v23, v90, v95
	;; [unrolled: 2-line block ×3, first 2 shown]
	v_fmac_f16_e32 v100, 0xb70e, v97
	v_add_f16_e32 v104, v104, v114
	v_fmac_f16_e32 v98, 0xb70e, v97
	v_sub_f16_e32 v21, v90, v95
	v_sub_f16_e32 v94, v95, v22
	;; [unrolled: 1-line block ×3, first 2 shown]
	v_add_f16_e32 v22, v22, v23
	v_add_f16_e32 v23, v20, v18
	v_sub_f16_e32 v95, v20, v18
	v_sub_f16_e32 v18, v18, v93
	v_fma_f16 v19, v19, 0xbb00, -v115
	v_add_f16_e32 v115, v117, v114
	v_sub_f16_e32 v114, v99, v100
	v_add_f16_e32 v99, v100, v99
	v_sub_f16_e32 v100, v104, v98
	;; [unrolled: 2-line block ×3, first 2 shown]
	v_mul_f16_e32 v94, 0x3a52, v94
	v_add_f16_e32 v23, v23, v93
	v_mul_f16_e32 v93, 0x2b26, v90
	v_add_f16_e32 v17, v17, v22
	v_mul_f16_e32 v95, 0x3846, v95
	v_mul_f16_e32 v104, 0xbb00, v18
	v_fmamk_f16 v90, v90, 0x2b26, v94
	v_fma_f16 v93, v21, 0x39e0, -v93
	v_fmamk_f16 v22, v22, 0xbcab, v17
	v_fma_f16 v18, v18, 0xbb00, -v95
	v_fma_f16 v21, v21, 0xb9e0, -v94
	;; [unrolled: 1-line block ×3, first 2 shown]
	v_fmamk_f16 v20, v20, 0xb574, v95
	v_add_f16_e32 v12, v12, v27
	v_add_f16_e32 v13, v13, v109
	;; [unrolled: 1-line block ×3, first 2 shown]
	v_fmac_f16_e32 v18, 0xb70e, v23
	v_add_f16_e32 v21, v21, v22
	v_add_f16_e32 v22, v90, v22
	v_fmac_f16_e32 v20, 0xb70e, v23
	v_sub_f16_e32 v8, v8, v108
	v_add_f16_e32 v14, v14, v15
	v_sub_f16_e32 v9, v9, v107
	v_add_f16_e32 v15, v13, v12
	v_sub_f16_e32 v10, v11, v10
	v_fmac_f16_e32 v94, 0xb70e, v23
	v_add_f16_e32 v23, v18, v93
	v_sub_f16_e32 v18, v93, v18
	v_sub_f16_e32 v93, v22, v20
	v_add_f16_e32 v20, v20, v22
	v_sub_f16_e32 v11, v13, v12
	v_sub_f16_e32 v12, v12, v14
	;; [unrolled: 1-line block ×3, first 2 shown]
	v_add_f16_e32 v14, v14, v15
	v_add_f16_e32 v15, v10, v9
	v_sub_f16_e32 v22, v10, v9
	v_sub_f16_e32 v9, v9, v8
	;; [unrolled: 1-line block ×3, first 2 shown]
	v_mul_f16_e32 v12, 0x3a52, v12
	v_add_f16_e32 v8, v15, v8
	v_mul_f16_e32 v15, 0x2b26, v13
	v_add_f16_e32 v16, v16, v14
	v_mul_f16_e32 v22, 0x3846, v22
	v_mul_f16_e32 v27, 0xbb00, v9
	v_fmamk_f16 v13, v13, 0x2b26, v12
	v_fma_f16 v15, v11, 0x39e0, -v15
	v_fmamk_f16 v14, v14, 0xbcab, v16
	v_fma_f16 v11, v11, 0xb9e0, -v12
	v_fma_f16 v12, v10, 0x3574, -v27
	v_fmamk_f16 v10, v10, 0xb574, v22
	v_add_f16_e32 v3, v3, v25
	v_add_f16_e32 v5, v5, v24
	v_fma_f16 v9, v9, 0xbb00, -v22
	v_add_f16_e32 v11, v11, v14
	v_fmac_f16_e32 v12, 0xb70e, v8
	v_add_f16_e32 v13, v13, v14
	v_fmac_f16_e32 v10, 0xb70e, v8
	v_sub_f16_e32 v0, v0, v106
	v_add_f16_e32 v6, v6, v7
	v_sub_f16_e32 v1, v1, v26
	v_add_f16_e32 v7, v5, v3
	;; [unrolled: 2-line block ×3, first 2 shown]
	v_fmac_f16_e32 v9, 0xb70e, v8
	v_sub_f16_e32 v14, v11, v12
	v_add_f16_e32 v11, v12, v11
	v_sub_f16_e32 v12, v13, v10
	v_add_f16_e32 v10, v10, v13
	v_sub_f16_e32 v4, v5, v3
	v_sub_f16_e32 v3, v3, v6
	;; [unrolled: 1-line block ×3, first 2 shown]
	v_add_f16_e32 v6, v6, v7
	v_add_f16_e32 v7, v2, v1
	v_sub_f16_e32 v13, v2, v1
	v_sub_f16_e32 v1, v1, v0
	v_add_f16_e32 v8, v9, v15
	v_sub_f16_e32 v9, v15, v9
	v_sub_f16_e32 v2, v0, v2
	v_mul_f16_e32 v3, 0x3a52, v3
	v_add_f16_e32 v0, v7, v0
	v_mul_f16_e32 v7, 0x2b26, v5
	v_add_f16_e64 v15, v143, v6
	v_mul_f16_e32 v13, 0x3846, v13
	v_mul_f16_e32 v22, 0xbb00, v1
	v_fmamk_f16 v5, v5, 0x2b26, v3
	v_fma_f16 v7, v4, 0x39e0, -v7
	v_fmamk_f16 v6, v6, 0xbcab, v15
	v_fma_f16 v1, v1, 0xbb00, -v13
	v_fma_f16 v3, v4, 0xb9e0, -v3
	;; [unrolled: 1-line block ×3, first 2 shown]
	v_fmamk_f16 v2, v2, 0xb574, v13
	v_fmac_f16_e32 v19, 0xb70e, v97
	v_add_f16_e32 v7, v7, v6
	v_fmac_f16_e32 v1, 0xb70e, v0
	v_add_f16_e32 v3, v3, v6
	;; [unrolled: 2-line block ×3, first 2 shown]
	v_fmac_f16_e32 v2, 0xb70e, v0
	ds_store_b16 v52, v133 offset:784
	ds_store_b16 v52, v131 offset:882
	;; [unrolled: 1-line block ×6, first 2 shown]
	v_add_f16_e32 v97, v19, v115
	v_sub_f16_e32 v19, v115, v19
	v_sub_f16_e32 v90, v21, v94
	v_add_f16_e32 v21, v94, v21
	v_add_f16_e32 v0, v1, v7
	v_sub_f16_e32 v1, v7, v1
	v_sub_f16_e32 v6, v3, v4
	v_add_f16_e32 v3, v4, v3
	v_sub_f16_e32 v4, v5, v2
	v_add_f16_e32 v2, v2, v5
	ds_store_b16 v144, v113 offset:1372
	ds_store_b16 v144, v126 offset:1470
	;; [unrolled: 1-line block ×35, first 2 shown]
	global_wb scope:SCOPE_SE
	s_wait_dscnt 0x0
	s_barrier_signal -1
	s_barrier_wait -1
	global_inv scope:SCOPE_SE
	s_and_saveexec_b32 s2, vcc_lo
	s_cbranch_execz .LBB0_15
; %bb.14:
	v_mul_i32_i24_e32 v12, 6, v51
	v_mov_b32_e32 v13, 0
	v_mul_i32_i24_e32 v26, -12, v51
	v_mad_co_u64_u32 v[16:17], null, s0, v30, 0
	v_add_co_u32 v18, s2, s8, v40
	s_delay_alu instid0(VALU_DEP_4) | instskip(SKIP_4) | instid1(VALU_DEP_4)
	v_lshlrev_b64_e32 v[0:1], 2, v[12:13]
	v_mul_i32_i24_e32 v12, 6, v53
	s_wait_alu 0xf1fe
	v_add_co_ci_u32_e64 v19, null, s9, 0, s2
	v_lshlrev_b64_e32 v[28:29], 2, v[28:29]
	v_add_co_u32 v4, vcc_lo, s8, v0
	s_wait_alu 0xfffd
	v_add_co_ci_u32_e32 v5, vcc_lo, s9, v1, vcc_lo
	s_clause 0x1
	global_load_b128 v[0:3], v[4:5], off offset:1344
	global_load_b64 v[22:23], v[4:5], off offset:1360
	v_lshlrev_b64_e32 v[4:5], 2, v[12:13]
	v_mul_i32_i24_e32 v12, 6, v50
	s_delay_alu instid0(VALU_DEP_2) | instskip(SKIP_1) | instid1(VALU_DEP_3)
	v_add_co_u32 v8, vcc_lo, s8, v4
	s_wait_alu 0xfffd
	v_add_co_ci_u32_e32 v9, vcc_lo, s9, v5, vcc_lo
	s_clause 0x1
	global_load_b128 v[4:7], v[8:9], off offset:1344
	global_load_b64 v[20:21], v[8:9], off offset:1360
	v_lshlrev_b64_e32 v[8:9], 2, v[12:13]
	v_mul_i32_i24_e32 v12, 6, v49
	v_add_nc_u32_e32 v49, v54, v26
	s_delay_alu instid0(VALU_DEP_3) | instskip(SKIP_1) | instid1(VALU_DEP_4)
	v_add_co_u32 v14, vcc_lo, s8, v8
	s_wait_alu 0xfffd
	v_add_co_ci_u32_e32 v15, vcc_lo, s9, v9, vcc_lo
	s_clause 0x1
	global_load_b128 v[8:11], v[14:15], off offset:1344
	global_load_b64 v[24:25], v[14:15], off offset:1360
	v_mul_lo_u32 v14, s1, v30
	v_mul_lo_u32 v15, s0, v31
	v_lshlrev_b64_e32 v[26:27], 2, v[12:13]
	v_mul_i32_i24_e32 v12, 6, v48
	ds_load_u16 v40, v52 offset:1274
	ds_load_u16 v30, v59
	ds_load_u16 v31, v58
	;; [unrolled: 1-line block ×5, first 2 shown]
	ds_load_u16 v50, v52 offset:4704
	ds_load_u16 v51, v52 offset:4606
	;; [unrolled: 1-line block ×29, first 2 shown]
	ds_load_u16 v49, v49
	v_add_co_u32 v26, vcc_lo, s8, v26
	v_add3_u32 v17, v17, v15, v14
	v_lshlrev_b64_e32 v[14:15], 2, v[12:13]
	v_mul_i32_i24_e32 v12, 6, v47
	s_wait_alu 0xfffd
	v_add_co_ci_u32_e32 v27, vcc_lo, s9, v27, vcc_lo
	v_lshlrev_b64_e32 v[16:17], 2, v[16:17]
	s_delay_alu instid0(VALU_DEP_3) | instskip(SKIP_3) | instid1(VALU_DEP_3)
	v_lshlrev_b64_e32 v[12:13], 2, v[12:13]
	v_add_co_u32 v14, vcc_lo, s8, v14
	s_wait_alu 0xfffd
	v_add_co_ci_u32_e32 v15, vcc_lo, s9, v15, vcc_lo
	v_add_co_u32 v47, vcc_lo, s8, v12
	s_wait_alu 0xfffd
	v_add_co_ci_u32_e32 v48, vcc_lo, s9, v13, vcc_lo
	s_clause 0x5
	global_load_b128 v[107:110], v[26:27], off offset:1344
	global_load_b64 v[119:120], v[26:27], off offset:1360
	global_load_b128 v[111:114], v[14:15], off offset:1344
	global_load_b64 v[121:122], v[14:15], off offset:1360
	;; [unrolled: 2-line block ×3, first 2 shown]
	ds_load_u16 v135, v52 offset:1176
	s_wait_loadcnt 0xb
	v_lshrrev_b32_e32 v47, 16, v0
	v_lshrrev_b32_e32 v48, 16, v1
	;; [unrolled: 1-line block ×3, first 2 shown]
	s_wait_loadcnt 0xa
	v_lshrrev_b32_e32 v132, 16, v23
	v_lshrrev_b32_e32 v133, 16, v3
	s_wait_dscnt 0x24
	v_mul_f16_e64 v136, v47, v40
	v_mul_f16_e32 v47, v92, v47
	v_lshrrev_b32_e32 v134, 16, v22
	s_wait_dscnt 0x1e
	v_mul_f16_e64 v137, v132, v50
	s_wait_dscnt 0x18
	v_mul_f16_e64 v138, v133, v55
	v_fmac_f16_e64 v136, v92, v0
	v_fma_f16 v0, v0, v40, -v47
	ds_load_u16 v40, v52 offset:1078
	s_wait_dscnt 0x13
	v_mul_f16_e64 v139, v131, v58
	s_wait_dscnt 0xe
	v_mul_f16_e64 v140, v48, v116
	;; [unrolled: 2-line block ×3, first 2 shown]
	v_mul_f16_e64 v132, v103, v132
	v_mul_f16_e64 v131, v96, v131
	;; [unrolled: 1-line block ×4, first 2 shown]
	v_mul_f16_e32 v48, v91, v48
	s_wait_loadcnt 0x9
	v_lshrrev_b32_e32 v142, 16, v4
	v_lshrrev_b32_e32 v143, 16, v5
	;; [unrolled: 1-line block ×4, first 2 shown]
	s_wait_loadcnt 0x8
	v_lshrrev_b32_e32 v146, 16, v20
	v_lshrrev_b32_e32 v147, 16, v21
	v_fmac_f16_e64 v137, v103, v23
	v_fmac_f16_e64 v138, v101, v3
	;; [unrolled: 1-line block ×5, first 2 shown]
	v_fma_f16 v23, v23, v50, -v132
	v_fma_f16 v2, v2, v58, -v131
	;; [unrolled: 1-line block ×5, first 2 shown]
	s_wait_dscnt 0x1
	v_mul_f16_e64 v47, v142, v135
	v_mul_f16_e64 v48, v147, v51
	;; [unrolled: 1-line block ×12, first 2 shown]
	s_wait_loadcnt 0x7
	v_lshrrev_b32_e32 v116, 16, v8
	v_lshrrev_b32_e32 v131, 16, v9
	v_lshrrev_b32_e32 v132, 16, v10
	v_lshrrev_b32_e32 v133, 16, v11
	s_wait_loadcnt 0x6
	v_lshrrev_b32_e32 v134, 16, v24
	v_lshrrev_b32_e32 v142, 16, v25
	v_sub_f16_e64 v143, v136, v137
	v_sub_f16_e64 v144, v138, v139
	;; [unrolled: 1-line block ×3, first 2 shown]
	v_add_f16_e64 v146, v0, v23
	v_add_f16_e64 v147, v3, v2
	;; [unrolled: 1-line block ×6, first 2 shown]
	v_sub_f16_e32 v0, v0, v23
	v_sub_f16_e32 v2, v3, v2
	;; [unrolled: 1-line block ×3, first 2 shown]
	v_fmac_f16_e32 v47, v89, v4
	v_fmac_f16_e32 v48, v88, v21
	;; [unrolled: 1-line block ×5, first 2 shown]
	ds_load_u16 v84, v52 offset:980
	v_fmac_f16_e32 v58, v87, v20
	v_fma_f16 v3, v21, v51, -v91
	v_fma_f16 v4, v4, v135, -v92
	;; [unrolled: 1-line block ×6, first 2 shown]
	s_wait_dscnt 0x1
	v_mul_f16_e32 v21, v116, v40
	v_mul_f16_e64 v22, v142, v53
	v_mul_f16_e64 v23, v133, v57
	;; [unrolled: 1-line block ×6, first 2 shown]
	v_mul_f16_e32 v86, v83, v116
	v_mul_f16_e64 v87, v79, v132
	v_mul_f16_e64 v88, v80, v133
	;; [unrolled: 1-line block ×4, first 2 shown]
	v_sub_f16_e64 v92, v143, v144
	v_sub_f16_e64 v96, v144, v145
	v_add_f16_e64 v101, v144, v145
	v_sub_f16_e64 v102, v146, v147
	v_add_f16_e64 v116, v146, v148
	v_sub_f16_e64 v117, v136, v137
	v_sub_f16_e64 v128, v137, v138
	v_add_f16_e64 v131, v136, v138
	v_sub_f16_e64 v132, v0, v2
	v_sub_f16_e64 v133, v2, v1
	v_add_f16_e32 v2, v2, v1
	v_sub_f16_e64 v134, v145, v143
	v_sub_f16_e64 v136, v138, v136
	;; [unrolled: 1-line block ×5, first 2 shown]
	v_add_f16_e64 v141, v4, v3
	v_add_f16_e64 v144, v5, v20
	v_add_f16_e32 v47, v47, v48
	v_add_f16_e32 v48, v50, v54
	;; [unrolled: 1-line block ×3, first 2 shown]
	v_sub_f16_e64 v103, v147, v148
	v_sub_f16_e64 v135, v148, v146
	v_sub_f16_e32 v1, v1, v0
	v_add_f16_e64 v142, v7, v6
	v_sub_f16_e32 v3, v4, v3
	v_sub_f16_e32 v4, v7, v6
	;; [unrolled: 1-line block ×3, first 2 shown]
	v_fmac_f16_e32 v21, v83, v8
	v_fmac_f16_e32 v22, v82, v25
	;; [unrolled: 1-line block ×6, first 2 shown]
	v_fma_f16 v6, v25, v53, -v85
	v_fma_f16 v7, v8, v40, -v86
	;; [unrolled: 1-line block ×6, first 2 shown]
	v_mul_f16_e32 v25, 0x3a52, v102
	v_add_f16_e64 v53, v147, v116
	v_mul_f16_e32 v54, 0x3a52, v117
	v_mul_f16_e64 v55, 0x2b26, v128
	v_add_f16_e64 v57, v137, v131
	v_mul_f16_e64 v58, 0x3846, v133
	v_add_f16_e32 v0, v0, v2
	v_mul_f16_e64 v2, 0xbb00, v134
	v_sub_f16_e64 v80, v139, v140
	v_add_f16_e64 v85, v141, v144
	v_add_f16_e32 v88, v47, v50
	v_mul_f16_e32 v20, 0x3846, v96
	v_mul_f16_e32 v40, 0x2b26, v103
	;; [unrolled: 1-line block ×3, first 2 shown]
	v_add_f16_e64 v81, v139, v140
	v_sub_f16_e64 v83, v142, v144
	v_sub_f16_e32 v87, v48, v50
	v_sub_f16_e32 v89, v3, v4
	;; [unrolled: 1-line block ×3, first 2 shown]
	v_add_f16_e32 v4, v4, v5
	v_sub_f16_e32 v5, v5, v3
	v_sub_f16_e32 v103, v23, v51
	;; [unrolled: 1-line block ×3, first 2 shown]
	v_add_f16_e32 v116, v7, v6
	v_add_f16_e32 v118, v10, v8
	v_add_f16_e64 v128, v9, v11
	v_add_f16_e64 v129, v21, v22
	v_add_f16_e32 v56, v56, v59
	v_sub_f16_e32 v59, v7, v6
	v_sub_f16_e32 v6, v10, v8
	v_sub_f16_e64 v131, v9, v11
	v_add_f16_e32 v8, v49, v53
	v_fmamk_f16 v10, v117, 0x3a52, v55
	v_add_f16_e32 v9, v77, v57
	v_fma_f16 v11, v92, 0x3574, -v2
	v_fma_f16 v2, v135, 0xb9e0, -v25
	;; [unrolled: 1-line block ×5, first 2 shown]
	v_mul_f16_e32 v55, 0x3846, v80
	v_add_f16_e64 v80, v142, v85
	v_add_f16_e32 v85, v48, v88
	v_add_f16_e64 v24, v143, v101
	v_sub_f16_e64 v79, v138, v139
	v_sub_f16_e64 v82, v141, v142
	v_sub_f16_e32 v86, v47, v48
	v_sub_f16_e64 v96, v140, v138
	v_sub_f16_e32 v47, v50, v47
	v_sub_f16_e32 v50, v21, v22
	v_add_f16_e32 v21, v23, v51
	v_fmamk_f16 v22, v92, 0xb574, v20
	v_fmamk_f16 v7, v102, 0x3a52, v40
	v_fma_f16 v23, 0xb574, v132, v58
	v_fma_f16 v51, v132, 0x3574, -v78
	v_fma_f16 v40, v135, 0x39e0, -v40
	;; [unrolled: 1-line block ×3, first 2 shown]
	v_add_f16_e64 v58, v138, v81
	v_mul_f16_e32 v78, 0x2b26, v83
	v_mul_f16_e32 v83, 0x2b26, v87
	;; [unrolled: 1-line block ×4, first 2 shown]
	v_add_f16_e32 v102, v103, v115
	v_add_f16_e64 v132, v116, v128
	v_add_f16_e64 v135, v129, v56
	v_sub_f16_e64 v136, v59, v6
	v_sub_f16_e64 v137, v6, v131
	v_add_f16_e64 v138, v6, v131
	v_fmamk_f16 v6, v53, 0xbcab, v8
	v_fmamk_f16 v53, v57, 0xbcab, v9
	v_add_f16_e32 v48, v30, v80
	v_add_f16_e32 v49, v76, v85
	v_sub_f16_e64 v101, v144, v141
	v_mul_f16_e32 v77, 0x3a52, v82
	v_mul_f16_e32 v81, 0x3a52, v86
	v_add_f16_e32 v3, v3, v4
	v_mul_f16_e32 v4, 0xbb00, v96
	v_sub_f16_e32 v91, v50, v103
	v_sub_f16_e32 v92, v103, v115
	v_sub_f16_e32 v103, v116, v118
	v_sub_f16_e64 v117, v118, v128
	v_sub_f16_e64 v133, v129, v21
	;; [unrolled: 1-line block ×3, first 2 shown]
	v_sub_f16_e32 v115, v115, v50
	v_fmac_f16_e32 v22, 0xb70e, v24
	v_fmac_f16_e32 v11, 0xb70e, v24
	;; [unrolled: 1-line block ×4, first 2 shown]
	v_fmamk_f16 v57, v79, 0xb574, v55
	v_fmamk_f16 v24, v82, 0x3a52, v78
	;; [unrolled: 1-line block ×4, first 2 shown]
	v_fma_f16 v88, v89, 0x3574, -v88
	v_add_f16_e32 v89, v50, v102
	v_add_f16_e64 v50, v118, v132
	v_add_f16_e64 v102, v21, v135
	v_add_f16_e32 v21, v7, v6
	v_add_f16_e32 v118, v10, v53
	;; [unrolled: 1-line block ×6, first 2 shown]
	v_fmamk_f16 v40, v80, 0xbcab, v48
	v_fmamk_f16 v53, v85, 0xbcab, v49
	v_fmac_f16_e32 v23, 0xb70e, v0
	v_fmac_f16_e32 v51, 0xb70e, v0
	v_fma_f16 v79, v79, 0x3574, -v4
	v_fma_f16 v86, v101, 0xb9e0, -v77
	;; [unrolled: 1-line block ×7, first 2 shown]
	v_mul_f16_e32 v96, 0x2b26, v117
	v_mul_f16_e64 v101, 0x2b26, v134
	v_fmac_f16_e32 v57, 0xb70e, v58
	v_fmac_f16_e32 v82, 0xb70e, v3
	v_add_f16_e32 v76, v31, v50
	v_add_f16_e32 v77, v75, v102
	;; [unrolled: 1-line block ×3, first 2 shown]
	v_sub_f16_e32 v7, v7, v54
	v_add_f16_e32 v54, v24, v40
	v_add_f16_e32 v75, v30, v53
	v_mul_f16_e32 v83, 0x3846, v92
	v_fmac_f16_e32 v79, 0xb70e, v58
	v_fmac_f16_e32 v88, 0xb70e, v3
	v_fmac_f16_e32 v55, 0xb70e, v58
	v_fmac_f16_e32 v87, 0xb70e, v3
	v_fmamk_f16 v58, v103, 0x3a52, v96
	v_fma_f16 v85, 0x3a52, v133, v101
	v_add_f16_e32 v0, v22, v21
	v_sub_f16_e32 v1, v118, v23
	v_add_f16_e32 v2, v11, v10
	v_sub_f16_e32 v3, v25, v51
	v_sub_f16_e32 v4, v6, v20
	v_add_f16_e32 v6, v20, v6
	v_sub_f16_e32 v10, v10, v11
	v_add_f16_e32 v11, v51, v25
	;; [unrolled: 2-line block ×3, first 2 shown]
	v_add_f16_e32 v51, v86, v40
	v_add_f16_e32 v81, v81, v53
	;; [unrolled: 1-line block ×4, first 2 shown]
	v_fmamk_f16 v78, v50, 0xbcab, v76
	v_fmamk_f16 v86, v102, 0xbcab, v77
	v_add_f16_e32 v22, v57, v54
	v_sub_f16_e32 v23, v75, v82
	v_sub_f16_e32 v53, v54, v57
	v_add_f16_e32 v54, v82, v75
	v_add_f16_e64 v75, v59, v138
	v_mul_f16_e32 v57, 0xbb00, v115
	v_sub_f16_e64 v59, v131, v59
	v_mul_f16_e64 v117, 0x3846, v137
	v_fmamk_f16 v80, v91, 0xb574, v83
	v_add_f16_e32 v24, v79, v51
	v_sub_f16_e32 v25, v81, v88
	v_add_f16_e32 v31, v87, v47
	v_sub_f16_e32 v47, v47, v87
	;; [unrolled: 2-line block ×3, first 2 shown]
	v_add_f16_e32 v51, v88, v81
	v_mul_f16_e64 v58, 0x3a52, v133
	v_add_f16_e32 v81, v85, v86
	v_fma_f16 v82, v91, 0x3574, -v57
	v_sub_f16_e64 v85, v56, v129
	ds_load_u16 v129, v52 offset:882
	v_mul_f16_e32 v88, 0xbb00, v59
	v_fma_f16 v83, v115, 0xbb00, -v83
	v_fmac_f16_e32 v80, 0xb70e, v89
	v_fma_f16 v79, 0xb574, v136, v117
	v_sub_f16_e64 v57, v128, v116
	v_fmac_f16_e32 v82, 0xb70e, v89
	v_fma_f16 v58, v85, 0xb9e0, -v58
	v_fma_f16 v88, v136, 0x3574, -v88
	v_fmac_f16_e32 v83, 0xb70e, v89
	v_fma_f16 v89, v59, 0xbb00, -v117
	v_fma_f16 v85, v85, 0x39e0, -v101
	ds_load_u16 v134, v52 offset:2940
	ds_load_u16 v136, v52 offset:2254
	ds_load_u16 v138, v52 offset:1568
	s_clause 0x1
	global_load_b128 v[115:118], v[18:19], off offset:1344
	global_load_b64 v[101:102], v[18:19], off offset:1360
	v_mul_f16_e32 v92, 0x3a52, v103
	v_add_f16_e32 v85, v85, v86
	s_wait_loadcnt 0x7
	v_lshrrev_b32_e32 v103, 16, v109
	v_lshrrev_b32_e32 v128, 16, v110
	s_wait_loadcnt 0x6
	v_lshrrev_b32_e32 v132, 16, v119
	v_fma_f16 v91, v57, 0xb9e0, -v92
	v_fma_f16 v57, v57, 0x39e0, -v96
	v_add_f16_e32 v92, v58, v86
	v_lshrrev_b32_e32 v86, 16, v107
	v_lshrrev_b32_e32 v96, 16, v108
	v_fmac_f16_e32 v89, 0xb70e, v75
	v_lshrrev_b32_e32 v133, 16, v120
	v_mul_f16_e64 v135, v128, v123
	s_wait_dscnt 0x4
	v_mul_f16_e64 v131, v86, v84
	v_mul_f16_e64 v137, v103, v124
	;; [unrolled: 1-line block ×4, first 2 shown]
	v_fmac_f16_e32 v79, 0xb70e, v75
	v_fmac_f16_e32 v88, 0xb70e, v75
	v_mul_f16_e64 v141, v133, v126
	v_fmac_f16_e64 v135, v72, v110
	v_fmac_f16_e64 v137, v71, v109
	;; [unrolled: 1-line block ×4, first 2 shown]
	v_add_f16_e32 v75, v89, v85
	v_fmac_f16_e64 v131, v74, v107
	v_sub_f16_e32 v19, v85, v89
	v_mul_f16_e64 v85, v69, v133
	v_mul_f16_e32 v74, v74, v86
	v_mul_f16_e64 v73, v73, v132
	v_mul_f16_e32 v70, v70, v96
	v_add_f16_e32 v91, v91, v78
	v_add_f16_e32 v78, v57, v78
	v_fmac_f16_e64 v141, v69, v120
	v_sub_f16_e64 v142, v135, v137
	v_sub_f16_e64 v143, v139, v140
	v_fma_f16 v86, v120, v126, -v85
	v_fma_f16 v74, v107, v84, -v74
	v_mul_f16_e32 v71, v71, v103
	v_mul_f16_e64 v72, v72, v128
	v_fma_f16 v73, v119, v130, -v73
	v_fma_f16 v85, v108, v125, -v70
	v_add_f16_e32 v57, v82, v91
	v_sub_f16_e32 v59, v78, v83
	v_add_f16_e32 v18, v83, v78
	v_sub_f16_e64 v78, v131, v141
	v_sub_f16_e32 v69, v91, v82
	v_add_f16_e64 v84, v142, v143
	v_add_f16_e32 v89, v74, v86
	v_fma_f16 v91, v109, v124, -v71
	v_fma_f16 v96, v110, v123, -v72
	v_add_f16_e32 v103, v85, v73
	v_sub_f16_e32 v58, v92, v88
	v_add_f16_e32 v70, v88, v92
	v_add_f16_e32 v92, v78, v84
	v_add_f16_e32 v84, v96, v91
	v_add_f16_e32 v107, v89, v103
	v_sub_f16_e32 v30, v40, v55
	v_add_f16_e32 v40, v55, v40
	v_add_f16_e32 v55, v80, v87
	v_sub_f16_e32 v56, v81, v79
	v_sub_f16_e32 v71, v87, v80
	v_add_f16_e32 v72, v79, v81
	v_add_f16_e32 v80, v84, v107
	v_add_f16_e64 v81, v131, v141
	v_add_f16_e64 v87, v139, v140
	v_sub_f16_e32 v79, v84, v103
	v_sub_f16_e32 v107, v89, v84
	v_add_f16_e32 v84, v90, v80
	v_add_f16_e64 v90, v135, v137
	v_add_f16_e32 v108, v81, v87
	v_sub_f16_e64 v83, v142, v143
	v_sub_f16_e64 v82, v78, v142
	v_sub_f16_e32 v91, v96, v91
	v_sub_f16_e32 v73, v85, v73
	v_add_f16_e32 v108, v90, v108
	v_sub_f16_e64 v78, v143, v78
	v_mul_f16_e32 v83, 0x3846, v83
	v_mul_f16_e32 v79, 0x2b26, v79
	;; [unrolled: 1-line block ×3, first 2 shown]
	v_sub_f16_e32 v110, v90, v87
	v_add_f16_e32 v85, v68, v108
	v_sub_f16_e32 v74, v74, v86
	v_sub_f16_e32 v68, v91, v73
	v_mul_f16_e32 v123, 0xbb00, v78
	v_sub_f16_e32 v89, v103, v89
	v_fmamk_f16 v88, v82, 0xb574, v83
	v_fmamk_f16 v107, v107, 0x3a52, v79
	;; [unrolled: 1-line block ×3, first 2 shown]
	v_sub_f16_e32 v90, v81, v90
	v_mul_f16_e32 v96, 0x2b26, v110
	v_sub_f16_e32 v110, v74, v91
	v_mul_f16_e32 v119, 0x3846, v68
	v_add_f16_e32 v91, v91, v73
	v_sub_f16_e32 v81, v87, v81
	v_sub_f16_e32 v73, v73, v74
	v_fma_f16 v87, v82, 0x3574, -v123
	v_fma_f16 v82, v89, 0xb9e0, -v109
	v_add_f16_e32 v86, v107, v80
	v_fmamk_f16 v107, v90, 0x3a52, v96
	v_fmamk_f16 v108, v108, 0xbcab, v85
	v_mul_f16_e32 v90, 0x3a52, v90
	v_add_f16_e32 v74, v74, v91
	v_mul_f16_e32 v91, 0xbb00, v73
	v_add_f16_e32 v103, v82, v80
	v_fma_f16 v79, v89, 0x39e0, -v79
	v_fma_f16 v82, v78, 0xbb00, -v83
	;; [unrolled: 1-line block ×4, first 2 shown]
	v_fmac_f16_e32 v88, 0xb70e, v92
	v_fmamk_f16 v120, v110, 0xb574, v119
	v_fma_f16 v90, v81, 0xb9e0, -v90
	v_fmac_f16_e32 v87, 0xb70e, v92
	v_fma_f16 v91, v110, 0x3574, -v91
	v_add_f16_e32 v81, v79, v80
	v_fmac_f16_e32 v82, 0xb70e, v92
	v_fmac_f16_e32 v83, 0xb70e, v74
	v_add_f16_e32 v89, v73, v108
	s_wait_loadcnt 0x4
	v_lshrrev_b32_e32 v92, 16, v122
	v_fmac_f16_e32 v120, 0xb70e, v74
	v_fmac_f16_e32 v91, 0xb70e, v74
	v_add_f16_e32 v74, v87, v103
	v_sub_f16_e32 v79, v81, v82
	v_add_f16_e32 v80, v83, v89
	v_add_f16_e32 v81, v82, v81
	v_sub_f16_e32 v82, v89, v83
	v_sub_f16_e32 v83, v103, v87
	v_lshrrev_b32_e32 v87, 16, v111
	v_mul_f16_e32 v110, v92, v127
	v_lshrrev_b32_e32 v125, 16, v121
	v_lshrrev_b32_e32 v89, 16, v112
	;; [unrolled: 1-line block ×4, first 2 shown]
	s_wait_dscnt 0x3
	v_mul_f16_e64 v109, v87, v129
	v_fmac_f16_e32 v110, v63, v122
	v_mul_f16_e64 v131, v125, v105
	v_mul_f16_e32 v63, v63, v92
	s_wait_dscnt 0x2
	v_mul_f16_e64 v119, v96, v134
	s_wait_dscnt 0x1
	v_mul_f16_e64 v124, v103, v136
	v_fmac_f16_e32 v109, v67, v111
	s_wait_dscnt 0x0
	v_mul_f16_e64 v128, v89, v138
	v_mul_f16_e32 v67, v67, v87
	v_fmac_f16_e64 v131, v61, v121
	v_fma_f16 v87, v122, v127, -v63
	v_mul_f16_e32 v61, v61, v125
	v_mul_f16_e32 v63, v64, v89
	v_fmac_f16_e32 v119, v66, v114
	v_fmac_f16_e32 v124, v65, v113
	v_fmac_f16_e64 v128, v64, v112
	v_fma_f16 v67, v111, v129, -v67
	v_mul_f16_e32 v64, v65, v103
	v_mul_f16_e32 v65, v66, v96
	v_fma_f16 v66, v121, v105, -v61
	v_fma_f16 v89, v112, v138, -v63
	v_add_f16_e32 v90, v90, v108
	v_sub_f16_e32 v92, v119, v124
	v_sub_f16_e64 v96, v128, v131
	v_add_f16_e32 v103, v67, v87
	v_fma_f16 v105, v113, v136, -v64
	v_fma_f16 v65, v114, v134, -v65
	v_add_f16_e32 v111, v89, v66
	v_add_f16_e32 v107, v107, v108
	v_sub_f16_e32 v78, v90, v91
	v_sub_f16_e32 v63, v92, v96
	v_add_f16_e32 v61, v91, v90
	v_add_f16_e32 v91, v65, v105
	v_add_f16_e32 v112, v103, v111
	v_add_f16_e32 v68, v88, v86
	v_sub_f16_e32 v73, v107, v120
	v_sub_f16_e64 v130, v109, v110
	v_mul_f16_e32 v113, 0x3846, v63
	v_sub_f16_e32 v63, v86, v88
	v_add_f16_e32 v64, v120, v107
	v_sub_f16_e32 v86, v91, v111
	v_add_f16_e32 v107, v91, v112
	ds_load_u16 v108, v52 offset:784
	ds_load_u16 v123, v52 offset:2156
	;; [unrolled: 1-line block ×3, first 2 shown]
	v_sub_f16_e64 v90, v130, v92
	v_add_f16_e32 v92, v92, v96
	v_sub_f16_e32 v91, v103, v91
	v_mul_f16_e32 v86, 0x2b26, v86
	v_add_f16_e32 v88, v93, v107
	v_add_f16_e32 v93, v109, v110
	v_add_f16_e64 v109, v128, v131
	ds_load_u16 v131, v52 offset:1372
	v_add_f16_e32 v114, v119, v124
	v_sub_f16_e32 v65, v65, v105
	v_sub_f16_e32 v66, v89, v66
	v_sub_f16_e32 v67, v67, v87
	v_sub_f16_e64 v96, v96, v130
	v_fmamk_f16 v110, v91, 0x3a52, v86
	v_add_f16_e32 v119, v93, v109
	v_mul_f16_e32 v120, 0x3a52, v91
	v_sub_f16_e32 v91, v114, v109
	v_sub_f16_e32 v87, v65, v66
	;; [unrolled: 1-line block ×3, first 2 shown]
	v_add_f16_e32 v65, v65, v66
	v_mul_f16_e32 v122, 0xbb00, v96
	v_sub_f16_e32 v66, v66, v67
	v_fmamk_f16 v112, v90, 0xb574, v113
	v_add_f16_e64 v92, v130, v92
	v_add_f16_e32 v119, v114, v119
	v_sub_f16_e32 v114, v93, v114
	v_mul_f16_e32 v89, 0x2b26, v91
	v_mul_f16_e32 v87, 0x3846, v87
	v_add_f16_e32 v125, v67, v65
	v_fma_f16 v122, v90, 0x3574, -v122
	v_sub_f16_e32 v65, v111, v103
	v_mul_f16_e32 v67, 0xbb00, v66
	v_fma_f16 v96, v96, 0xbb00, -v113
	v_fmamk_f16 v107, v107, 0xbcab, v88
	v_fmac_f16_e32 v112, 0xb70e, v92
	v_fmamk_f16 v105, v114, 0x3a52, v89
	v_mul_f16_e32 v114, 0x3a52, v114
	v_fmamk_f16 v124, v121, 0xb574, v87
	v_sub_f16_e32 v90, v109, v93
	v_fmac_f16_e32 v122, 0xb70e, v92
	v_fma_f16 v93, v65, 0xb9e0, -v120
	v_fma_f16 v109, v121, 0x3574, -v67
	v_fma_f16 v65, v65, 0x39e0, -v86
	v_fmac_f16_e32 v96, 0xb70e, v92
	v_fma_f16 v92, v66, 0xbb00, -v87
	s_wait_loadcnt 0x3
	v_lshrrev_b32_e32 v111, 16, v12
	v_lshrrev_b32_e32 v113, 16, v13
	s_wait_loadcnt 0x2
	v_lshrrev_b32_e32 v127, 16, v26
	v_lshrrev_b32_e32 v128, 16, v27
	v_add_f16_e32 v110, v110, v107
	v_add_f16_e32 v91, v62, v119
	v_fmac_f16_e32 v124, 0xb70e, v125
	v_fma_f16 v103, v90, 0xb9e0, -v114
	v_add_f16_e32 v93, v93, v107
	v_fmac_f16_e32 v109, 0xb70e, v125
	v_add_f16_e32 v107, v65, v107
	v_fmac_f16_e32 v92, 0xb70e, v125
	v_lshrrev_b32_e32 v114, 16, v14
	v_lshrrev_b32_e32 v120, 16, v15
	ds_load_u16 v121, v52 offset:686
	s_wait_dscnt 0x4
	v_mul_f16_e32 v125, v111, v108
	s_wait_dscnt 0x2
	v_mul_f16_e64 v132, v113, v126
	v_mul_f16_e64 v133, v127, v100
	;; [unrolled: 1-line block ×3, first 2 shown]
	v_fmamk_f16 v119, v119, 0xbcab, v91
	v_sub_f16_e32 v86, v107, v96
	v_fma_f16 v87, v90, 0x39e0, -v89
	v_mul_f16_e64 v129, v120, v104
	v_mul_f16_e64 v130, v114, v123
	v_fmac_f16_e64 v132, v39, v13
	v_fmac_f16_e64 v133, v45, v26
	v_fmac_f16_e32 v125, v43, v12
	v_fmac_f16_e64 v134, v60, v27
	v_add_f16_e32 v89, v96, v107
	v_mul_f16_e64 v107, v60, v128
	v_mul_f16_e32 v43, v43, v111
	v_add_f16_e32 v103, v103, v119
	v_fmac_f16_e64 v129, v44, v15
	v_fmac_f16_e64 v130, v42, v14
	v_fma_f16 v27, v27, v106, -v107
	v_mul_f16_e32 v45, v45, v127
	v_mul_f16_e32 v39, v39, v113
	v_fma_f16 v12, v12, v108, -v43
	v_mul_f16_e32 v42, v42, v114
	v_mul_f16_e32 v43, v44, v120
	v_add_f16_e64 v107, v125, v134
	v_add_f16_e64 v108, v132, v133
	v_add_f16_e32 v62, v112, v110
	v_sub_f16_e32 v67, v103, v109
	v_fma_f16 v44, v26, v100, -v45
	v_fma_f16 v13, v13, v126, -v39
	;; [unrolled: 1-line block ×4, first 2 shown]
	v_add_f16_e32 v14, v109, v103
	v_sub_f16_e32 v15, v110, v112
	v_add_f16_e64 v109, v129, v130
	v_add_f16_e32 v110, v107, v108
	v_add_f16_e32 v105, v105, v119
	;; [unrolled: 1-line block ×3, first 2 shown]
	v_sub_f16_e64 v119, v129, v130
	v_sub_f16_e64 v135, v132, v133
	v_add_f16_e32 v39, v12, v27
	v_add_f16_e32 v45, v13, v44
	v_sub_f16_e32 v112, v109, v108
	v_add_f16_e32 v110, v109, v110
	v_sub_f16_e64 v96, v125, v134
	v_add_f16_e64 v26, v119, v135
	v_add_f16_e32 v104, v43, v42
	v_add_f16_e32 v106, v39, v45
	v_sub_f16_e32 v42, v43, v42
	v_sub_f16_e32 v13, v13, v44
	v_sub_f16_e32 v43, v107, v109
	v_mul_f16_e32 v44, 0x2b26, v112
	v_add_f16_e32 v109, v41, v110
	v_sub_f16_e32 v65, v105, v124
	v_add_f16_e32 v66, v122, v93
	v_add_f16_e32 v87, v92, v90
	v_sub_f16_e32 v90, v90, v92
	v_sub_f16_e64 v92, v119, v135
	v_sub_f16_e32 v60, v93, v122
	v_sub_f16_e32 v93, v96, v119
	v_add_f16_e32 v103, v96, v26
	v_add_f16_e32 v26, v124, v105
	v_sub_f16_e32 v105, v104, v45
	v_add_f16_e32 v106, v104, v106
	v_sub_f16_e32 v104, v39, v104
	v_sub_f16_e32 v12, v12, v27
	v_fmamk_f16 v41, v43, 0x3a52, v44
	v_fmamk_f16 v110, v110, 0xbcab, v109
	v_sub_f16_e64 v96, v135, v96
	v_mul_f16_e32 v92, 0x3846, v92
	v_add_f16_e32 v98, v98, v106
	v_mul_f16_e32 v111, 0x3a52, v104
	v_sub_f16_e32 v27, v42, v13
	v_sub_f16_e32 v112, v12, v42
	v_mul_f16_e32 v43, 0x3a52, v43
	v_add_f16_e32 v114, v41, v110
	v_add_f16_e32 v41, v42, v13
	v_mul_f16_e32 v42, 0xbb00, v96
	v_sub_f16_e32 v39, v45, v39
	v_sub_f16_e32 v45, v108, v107
	;; [unrolled: 1-line block ×3, first 2 shown]
	v_fmamk_f16 v100, v93, 0xb574, v92
	v_fmamk_f16 v106, v106, 0xbcab, v98
	v_mul_f16_e32 v113, 0x3846, v27
	v_add_f16_e32 v12, v12, v41
	v_fma_f16 v93, v93, 0x3574, -v42
	v_fma_f16 v41, v39, 0xb9e0, -v111
	v_fma_f16 v42, v45, 0xb9e0, -v43
	v_mul_f16_e32 v43, 0xbb00, v13
	v_mul_f16_e32 v105, 0x2b26, v105
	v_fmamk_f16 v119, v112, 0xb574, v113
	v_add_f16_e32 v107, v41, v106
	v_fma_f16 v13, v13, 0xbb00, -v113
	v_fma_f16 v111, v112, 0x3574, -v43
	;; [unrolled: 1-line block ×3, first 2 shown]
	v_fmamk_f16 v104, v104, 0x3a52, v105
	v_fmac_f16_e32 v119, 0xb70e, v12
	v_fmac_f16_e32 v93, 0xb70e, v103
	v_fma_f16 v39, v39, 0x39e0, -v105
	v_fma_f16 v92, v96, 0xbb00, -v92
	v_fmac_f16_e32 v111, 0xb70e, v12
	v_fmac_f16_e32 v13, 0xb70e, v12
	v_add_f16_e32 v12, v41, v110
	v_add_f16_e32 v104, v104, v106
	;; [unrolled: 1-line block ×3, first 2 shown]
	v_fmac_f16_e32 v92, 0xb70e, v103
	v_add_f16_e32 v41, v93, v107
	v_add_f16_e32 v96, v13, v12
	v_sub_f16_e32 v105, v12, v13
	v_sub_f16_e32 v106, v107, v93
	s_wait_loadcnt 0x1
	v_lshrrev_b32_e32 v12, 16, v115
	s_wait_loadcnt 0x0
	v_lshrrev_b32_e32 v13, 16, v102
	v_lshrrev_b32_e32 v107, 16, v116
	;; [unrolled: 1-line block ×3, first 2 shown]
	v_fmac_f16_e32 v100, 0xb70e, v103
	v_sub_f16_e32 v43, v44, v92
	v_add_f16_e32 v103, v92, v44
	v_lshrrev_b32_e32 v44, 16, v117
	v_lshrrev_b32_e32 v45, 16, v118
	s_wait_dscnt 0x0
	v_mul_f16_e32 v92, v12, v121
	v_mul_f16_e32 v93, v13, v99
	v_mul_f16_e64 v120, v107, v131
	v_mul_f16_e32 v123, v113, v94
	v_add_f16_e32 v108, v42, v110
	v_mul_f16_e32 v110, v45, v95
	v_mul_f16_e32 v112, v44, v97
	v_fmac_f16_e32 v92, v34, v115
	v_fmac_f16_e32 v93, v38, v102
	;; [unrolled: 1-line block ×6, first 2 shown]
	v_sub_f16_e32 v122, v92, v93
	v_mul_f16_e32 v13, v38, v13
	v_mul_f16_e32 v12, v34, v12
	;; [unrolled: 1-line block ×6, first 2 shown]
	v_add_f16_e32 v92, v92, v93
	v_add_f16_e32 v93, v120, v123
	v_sub_f16_e32 v42, v108, v111
	ds_load_u16 v52, v52
	v_sub_f16_e32 v38, v110, v112
	v_fma_f16 v13, v102, v99, -v13
	v_fma_f16 v12, v115, v121, -v12
	;; [unrolled: 1-line block ×6, first 2 shown]
	v_add_f16_e32 v95, v111, v108
	v_add_f16_e32 v110, v110, v112
	;; [unrolled: 1-line block ×6, first 2 shown]
	v_sub_f16_e32 v112, v110, v93
	v_add_f16_e32 v111, v110, v111
	v_add_f16_e32 v27, v100, v104
	v_sub_f16_e32 v37, v120, v123
	v_add_f16_e32 v101, v44, v45
	v_sub_f16_e32 v100, v104, v100
	v_sub_f16_e32 v104, v99, v45
	;; [unrolled: 1-line block ×5, first 2 shown]
	v_mul_f16_e32 v36, 0x2b26, v112
	v_add_f16_e32 v110, v32, v111
	v_sub_f16_e32 v94, v38, v37
	v_sub_f16_e32 v97, v122, v38
	v_add_f16_e32 v101, v99, v101
	v_add_f16_e32 v38, v38, v37
	v_sub_f16_e32 v99, v44, v99
	v_mul_f16_e32 v104, 0x2b26, v104
	v_sub_f16_e32 v12, v12, v13
	v_fmamk_f16 v32, v34, 0x3a52, v36
	v_fmamk_f16 v111, v111, 0xbcab, v110
	v_sub_f16_e32 v37, v37, v122
	v_sub_f16_e32 v44, v45, v44
	v_mul_hi_u32 v45, 0xbf112a8b, v46
	v_sub_f16_e32 v39, v114, v119
	v_mul_f16_e32 v94, 0x3846, v94
	v_add_f16_e32 v102, v119, v114
	s_wait_dscnt 0x0
	v_add_f16_e32 v52, v52, v101
	v_fmamk_f16 v108, v99, 0x3a52, v104
	v_mul_f16_e32 v99, 0x3a52, v99
	v_sub_f16_e32 v13, v35, v33
	v_sub_f16_e32 v113, v12, v35
	v_add_f16_e32 v35, v35, v33
	v_add_f16_e32 v114, v32, v111
	v_mul_f16_e32 v32, 0xbb00, v37
	v_fmamk_f16 v107, v97, 0xb574, v94
	v_fmamk_f16 v101, v101, 0xbcab, v52
	v_mul_f16_e32 v34, 0x3a52, v34
	v_add_f16_e32 v35, v12, v35
	v_sub_f16_e32 v12, v33, v12
	v_fma_f16 v97, v97, 0x3574, -v32
	v_fma_f16 v32, v44, 0xb9e0, -v99
	v_sub_f16_e32 v33, v93, v92
	v_lshrrev_b32_e32 v45, 8, v45
	v_mul_f16_e32 v13, 0x3846, v13
	v_mul_f16_e32 v92, 0xbb00, v12
	v_add_f16_e32 v93, v32, v101
	v_fma_f16 v32, v33, 0xb9e0, -v34
	v_mul_u32_u24_e32 v34, 0x157, v45
	v_fmamk_f16 v115, v113, 0xb574, v13
	v_add_f16_e32 v38, v122, v38
	v_fma_f16 v92, v113, 0x3574, -v92
	v_add_f16_e32 v116, v32, v111
	v_fma_f16 v32, v44, 0x39e0, -v104
	v_sub_nc_u32_e32 v104, v46, v34
	v_fma_f16 v44, v12, 0xbb00, -v13
	v_fma_f16 v37, v37, 0xbb00, -v94
	v_fma_f16 v33, v33, 0x39e0, -v36
	v_fmac_f16_e32 v107, 0xb70e, v38
	v_mad_co_u64_u32 v[12:13], null, s16, v104, 0
	v_add_nc_u32_e32 v45, 0x157, v104
	v_fmac_f16_e32 v115, 0xb70e, v35
	v_fmac_f16_e32 v97, 0xb70e, v38
	;; [unrolled: 1-line block ×3, first 2 shown]
	v_add_f16_e32 v36, v32, v101
	v_fmac_f16_e32 v37, 0xb70e, v38
	v_fmac_f16_e32 v44, 0xb70e, v35
	v_add_f16_e32 v38, v33, v111
	v_mad_co_u64_u32 v[32:33], null, s16, v45, 0
	v_mad_co_u64_u32 v[34:35], null, s17, v104, v[13:14]
	v_add_f16_e32 v108, v108, v101
	v_sub_f16_e32 v101, v36, v37
	v_add_f16_e32 v117, v37, v36
	v_add_nc_u32_e32 v36, 0x2ae, v104
	v_add_f16_e32 v113, v97, v93
	v_add_f16_e32 v111, v44, v38
	v_mov_b32_e32 v13, v34
	v_mad_co_u64_u32 v[33:34], null, s17, v45, v[33:34]
	v_add_co_u32 v34, vcc_lo, s6, v16
	s_wait_alu 0xfffd
	v_add_co_ci_u32_e32 v35, vcc_lo, s7, v17, vcc_lo
	v_add_nc_u32_e32 v45, 0x405, v104
	v_lshlrev_b64_e32 v[16:17], 2, v[12:13]
	v_add_co_u32 v12, vcc_lo, v34, v28
	s_wait_alu 0xfffd
	v_add_co_ci_u32_e32 v13, vcc_lo, v35, v29, vcc_lo
	v_mad_co_u64_u32 v[28:29], null, s16, v36, 0
	v_mad_co_u64_u32 v[34:35], null, s16, v45, 0
	v_lshlrev_b64_e32 v[32:33], 2, v[32:33]
	v_sub_f16_e32 v118, v38, v44
	v_sub_f16_e32 v93, v93, v97
	;; [unrolled: 1-line block ×3, first 2 shown]
	v_add_f16_e32 v97, v115, v114
	v_add_co_u32 v16, vcc_lo, v12, v16
	s_wait_alu 0xfffd
	v_add_co_ci_u32_e32 v17, vcc_lo, v13, v17, vcc_lo
	v_add_co_u32 v32, vcc_lo, v12, v32
	v_add_f16_e32 v112, v107, v108
	v_pack_b32_f16 v52, v110, v52
	v_add_nc_u32_e32 v107, 0x55c, v104
	v_mad_co_u64_u32 v[36:37], null, s17, v36, v[29:30]
	v_mov_b32_e32 v29, v35
	s_wait_alu 0xfffd
	v_add_co_ci_u32_e32 v33, vcc_lo, v13, v33, vcc_lo
	v_pack_b32_f16 v35, v97, v44
	v_mad_co_u64_u32 v[37:38], null, s16, v107, 0
	s_clause 0x1
	global_store_b32 v[16:17], v52, off
	global_store_b32 v[32:33], v35, off
	v_add_nc_u32_e32 v52, 0x6b3, v104
	v_mad_co_u64_u32 v[44:45], null, s17, v45, v[29:30]
	v_dual_mov_b32 v29, v36 :: v_dual_add_nc_u32 v104, 0x80a, v104
	v_add_nc_u32_e32 v36, 49, v46
	v_mov_b32_e32 v16, v38
	v_sub_f16_e32 v94, v116, v92
	v_add_f16_e32 v45, v92, v116
	v_mov_b32_e32 v35, v44
	v_mul_hi_u32 v44, 0xbf112a8b, v36
	v_mad_co_u64_u32 v[16:17], null, s17, v107, v[16:17]
	v_lshlrev_b64_e32 v[28:29], 2, v[28:29]
	s_delay_alu instid0(VALU_DEP_4)
	v_lshlrev_b64_e32 v[32:33], 2, v[34:35]
	v_pack_b32_f16 v97, v45, v93
	v_pack_b32_f16 v107, v118, v117
	v_sub_f16_e32 v99, v114, v115
	v_lshrrev_b32_e32 v92, 8, v44
	v_mov_b32_e32 v38, v16
	v_mad_co_u64_u32 v[16:17], null, s16, v52, 0
	v_add_co_u32 v28, vcc_lo, v12, v28
	s_delay_alu instid0(VALU_DEP_4) | instskip(NEXT) | instid1(VALU_DEP_4)
	v_mul_u32_u24_e32 v44, 0x157, v92
	v_lshlrev_b64_e32 v[34:35], 2, v[37:38]
	s_wait_alu 0xfffd
	v_add_co_ci_u32_e32 v29, vcc_lo, v13, v29, vcc_lo
	v_add_co_u32 v32, vcc_lo, v12, v32
	v_sub_nc_u32_e32 v38, v36, v44
	v_mad_co_u64_u32 v[44:45], null, s17, v52, v[17:18]
	v_mad_co_u64_u32 v[36:37], null, s16, v104, 0
	s_delay_alu instid0(VALU_DEP_3) | instskip(SKIP_3) | instid1(VALU_DEP_3)
	v_mad_u32_u24 v52, 0x961, v92, v38
	s_wait_alu 0xfffd
	v_add_co_ci_u32_e32 v33, vcc_lo, v13, v33, vcc_lo
	v_add_co_u32 v34, vcc_lo, v12, v34
	v_mad_co_u64_u32 v[92:93], null, s16, v52, 0
	v_mov_b32_e32 v17, v37
	s_wait_alu 0xfffd
	v_add_co_ci_u32_e32 v35, vcc_lo, v13, v35, vcc_lo
	v_pack_b32_f16 v45, v111, v101
	s_clause 0x2
	global_store_b32 v[28:29], v97, off
	global_store_b32 v[32:33], v107, off
	;; [unrolled: 1-line block ×3, first 2 shown]
	v_mov_b32_e32 v28, v93
	v_mad_co_u64_u32 v[37:38], null, s17, v104, v[17:18]
	v_dual_mov_b32 v17, v44 :: v_dual_add_nc_u32 v38, 0x157, v52
	s_delay_alu instid0(VALU_DEP_3) | instskip(SKIP_1) | instid1(VALU_DEP_3)
	v_mad_co_u64_u32 v[28:29], null, s17, v52, v[28:29]
	v_add_nc_u32_e32 v97, 0x2ae, v52
	v_mad_co_u64_u32 v[32:33], null, s16, v38, 0
	s_delay_alu instid0(VALU_DEP_4) | instskip(SKIP_1) | instid1(VALU_DEP_4)
	v_lshlrev_b64_e32 v[16:17], 2, v[16:17]
	v_lshlrev_b64_e32 v[34:35], 2, v[36:37]
	v_mad_co_u64_u32 v[36:37], null, s16, v97, 0
	v_mov_b32_e32 v93, v28
	v_pack_b32_f16 v94, v94, v113
	v_mov_b32_e32 v28, v33
	v_add_co_u32 v16, vcc_lo, v12, v16
	s_delay_alu instid0(VALU_DEP_4)
	v_lshlrev_b64_e32 v[44:45], 2, v[92:93]
	s_wait_alu 0xfffd
	v_add_co_ci_u32_e32 v17, vcc_lo, v13, v17, vcc_lo
	v_mad_co_u64_u32 v[28:29], null, s17, v38, v[28:29]
	v_add_co_u32 v34, vcc_lo, v12, v34
	v_mov_b32_e32 v29, v37
	s_wait_alu 0xfffd
	v_add_co_ci_u32_e32 v35, vcc_lo, v13, v35, vcc_lo
	v_add_co_u32 v37, vcc_lo, v12, v44
	s_wait_alu 0xfffd
	v_add_co_ci_u32_e32 v38, vcc_lo, v13, v45, vcc_lo
	v_mad_co_u64_u32 v[44:45], null, s17, v97, v[29:30]
	v_mov_b32_e32 v33, v28
	v_pack_b32_f16 v28, v109, v98
	v_pack_b32_f16 v92, v99, v112
	v_add_nc_u32_e32 v45, 0x405, v52
	s_clause 0x2
	global_store_b32 v[16:17], v94, off
	global_store_b32 v[34:35], v92, off
	;; [unrolled: 1-line block ×3, first 2 shown]
	v_dual_mov_b32 v37, v44 :: v_dual_add_nc_u32 v44, 0x55c, v52
	v_mad_co_u64_u32 v[28:29], null, s16, v45, 0
	v_lshlrev_b64_e32 v[16:17], 2, v[32:33]
	v_add_nc_u32_e32 v93, 0x62, v46
	s_delay_alu instid0(VALU_DEP_4) | instskip(SKIP_2) | instid1(VALU_DEP_4)
	v_mad_co_u64_u32 v[34:35], null, s16, v44, 0
	v_add_nc_u32_e32 v94, 0x6b3, v52
	v_lshlrev_b64_e32 v[32:33], 2, v[36:37]
	v_mul_hi_u32 v97, 0xbf112a8b, v93
	v_add_co_u32 v16, vcc_lo, v12, v16
	v_mad_co_u64_u32 v[36:37], null, s17, v45, v[29:30]
	v_mov_b32_e32 v29, v35
	v_mad_co_u64_u32 v[37:38], null, s16, v94, 0
	s_wait_alu 0xfffd
	v_add_co_ci_u32_e32 v17, vcc_lo, v13, v17, vcc_lo
	v_add_co_u32 v32, vcc_lo, v12, v32
	v_pack_b32_f16 v92, v102, v100
	s_wait_alu 0xfffd
	v_add_co_ci_u32_e32 v33, vcc_lo, v13, v33, vcc_lo
	v_pack_b32_f16 v35, v95, v106
	v_mad_co_u64_u32 v[44:45], null, s17, v44, v[29:30]
	v_lshrrev_b32_e32 v45, 8, v97
	s_clause 0x1
	global_store_b32 v[16:17], v92, off
	global_store_b32 v[32:33], v35, off
	v_mov_b32_e32 v16, v38
	v_pack_b32_f16 v95, v96, v43
	v_pack_b32_f16 v15, v26, v15
	v_mul_u32_u24_e32 v32, 0x157, v45
	v_mov_b32_e32 v35, v44
	v_mad_co_u64_u32 v[16:17], null, s17, v94, v[16:17]
	v_add_nc_u32_e32 v44, 0x80a, v52
	s_delay_alu instid0(VALU_DEP_4) | instskip(NEXT) | instid1(VALU_DEP_4)
	v_sub_nc_u32_e32 v17, v93, v32
	v_lshlrev_b64_e32 v[32:33], 2, v[34:35]
	v_pack_b32_f16 v52, v105, v103
	v_pack_b32_f16 v31, v31, v30
	v_mad_co_u64_u32 v[34:35], null, s16, v44, 0
	v_mad_u32_u24 v94, 0x961, v45, v17
	v_dual_mov_b32 v29, v36 :: v_dual_mov_b32 v38, v16
	v_pack_b32_f16 v8, v9, v8
	v_pack_b32_f16 v0, v1, v0
	s_delay_alu instid0(VALU_DEP_4) | instskip(NEXT) | instid1(VALU_DEP_4)
	v_mad_co_u64_u32 v[16:17], null, s16, v94, 0
	v_lshlrev_b64_e32 v[28:29], 2, v[28:29]
	v_lshlrev_b64_e32 v[36:37], 2, v[37:38]
	v_add_nc_u32_e32 v38, 0x157, v94
	s_delay_alu instid0(VALU_DEP_3) | instskip(NEXT) | instid1(VALU_DEP_3)
	v_add_co_u32 v28, vcc_lo, v12, v28
	v_mad_co_u64_u32 v[43:44], null, s17, v44, v[35:36]
	s_delay_alu instid0(VALU_DEP_3)
	v_mad_co_u64_u32 v[44:45], null, s16, v38, 0
	s_wait_alu 0xfffd
	v_add_co_ci_u32_e32 v29, vcc_lo, v13, v29, vcc_lo
	v_add_co_u32 v32, vcc_lo, v12, v32
	s_wait_alu 0xfffd
	v_add_co_ci_u32_e32 v33, vcc_lo, v13, v33, vcc_lo
	s_clause 0x1
	global_store_b32 v[28:29], v52, off
	global_store_b32 v[32:33], v95, off
	v_mov_b32_e32 v28, v45
	v_mad_co_u64_u32 v[92:93], null, s17, v94, v[17:18]
	v_add_co_u32 v36, vcc_lo, v12, v36
	s_wait_alu 0xfffd
	v_add_co_ci_u32_e32 v37, vcc_lo, v13, v37, vcc_lo
	v_pack_b32_f16 v17, v42, v41
	v_mad_co_u64_u32 v[28:29], null, s17, v38, v[28:29]
	v_mov_b32_e32 v35, v43
	v_add_nc_u32_e32 v29, 0x2ae, v94
	global_store_b32 v[36:37], v17, off
	v_mov_b32_e32 v17, v92
	v_pack_b32_f16 v43, v39, v27
	v_lshlrev_b64_e32 v[32:33], 2, v[34:35]
	v_mov_b32_e32 v45, v28
	v_mad_co_u64_u32 v[27:28], null, s16, v29, 0
	v_lshlrev_b64_e32 v[16:17], 2, v[16:17]
	v_add_nc_u32_e32 v41, 0x405, v94
	v_add_co_u32 v32, vcc_lo, v12, v32
	v_lshlrev_b64_e32 v[34:35], 2, v[44:45]
	v_add_nc_u32_e32 v45, 0x55c, v94
	s_wait_alu 0xfffd
	v_add_co_ci_u32_e32 v33, vcc_lo, v13, v33, vcc_lo
	v_add_co_u32 v16, vcc_lo, v12, v16
	v_mad_co_u64_u32 v[36:37], null, s16, v41, 0
	v_mad_co_u64_u32 v[28:29], null, s17, v29, v[28:29]
	s_wait_alu 0xfffd
	v_add_co_ci_u32_e32 v17, vcc_lo, v13, v17, vcc_lo
	v_mad_co_u64_u32 v[38:39], null, s16, v45, 0
	v_add_co_u32 v34, vcc_lo, v12, v34
	v_pack_b32_f16 v44, v91, v88
	s_wait_alu 0xfffd
	v_add_co_ci_u32_e32 v35, vcc_lo, v13, v35, vcc_lo
	v_mov_b32_e32 v29, v37
	s_clause 0x2
	global_store_b32 v[32:33], v43, off
	global_store_b32 v[16:17], v44, off
	;; [unrolled: 1-line block ×3, first 2 shown]
	v_add_nc_u32_e32 v34, 0x93, v46
	v_lshlrev_b64_e32 v[16:17], 2, v[27:28]
	v_mov_b32_e32 v15, v39
	v_mad_co_u64_u32 v[41:42], null, s17, v41, v[29:30]
	s_delay_alu instid0(VALU_DEP_4) | instskip(SKIP_1) | instid1(VALU_DEP_4)
	v_mul_hi_u32 v29, 0xbf112a8b, v34
	v_pack_b32_f16 v43, v14, v60
	v_mad_co_u64_u32 v[26:27], null, s17, v45, v[15:16]
	v_add_co_u32 v15, vcc_lo, v12, v16
	s_wait_alu 0xfffd
	v_add_co_ci_u32_e32 v16, vcc_lo, v13, v17, vcc_lo
	v_add_nc_u32_e32 v17, 0x6b3, v94
	v_mov_b32_e32 v37, v41
	v_lshrrev_b32_e32 v41, 8, v29
	v_dual_mov_b32 v39, v26 :: v_dual_add_nc_u32 v42, 0x80a, v94
	s_delay_alu instid0(VALU_DEP_4) | instskip(NEXT) | instid1(VALU_DEP_3)
	v_mad_co_u64_u32 v[32:33], null, s16, v17, 0
	v_mul_u32_u24_e32 v35, 0x157, v41
	v_lshlrev_b64_e32 v[27:28], 2, v[36:37]
	v_pack_b32_f16 v44, v90, v89
	s_delay_alu instid0(VALU_DEP_4) | instskip(NEXT) | instid1(VALU_DEP_4)
	v_mov_b32_e32 v14, v33
	v_sub_nc_u32_e32 v33, v34, v35
	s_delay_alu instid0(VALU_DEP_4) | instskip(SKIP_1) | instid1(VALU_DEP_4)
	v_add_co_u32 v26, vcc_lo, v12, v27
	v_mad_co_u64_u32 v[34:35], null, s16, v42, 0
	v_mad_co_u64_u32 v[36:37], null, s17, v17, v[14:15]
	s_wait_alu 0xfffd
	v_add_co_ci_u32_e32 v27, vcc_lo, v13, v28, vcc_lo
	v_lshlrev_b64_e32 v[28:29], 2, v[38:39]
	v_mad_u32_u24 v39, 0x961, v41, v33
	v_mov_b32_e32 v14, v35
	v_pack_b32_f16 v17, v87, v86
	v_mov_b32_e32 v33, v36
	s_delay_alu instid0(VALU_DEP_4)
	v_mad_co_u64_u32 v[37:38], null, s16, v39, 0
	v_add_co_u32 v28, vcc_lo, v12, v28
	s_wait_alu 0xfffd
	v_add_co_ci_u32_e32 v29, vcc_lo, v13, v29, vcc_lo
	v_mad_co_u64_u32 v[41:42], null, s17, v42, v[14:15]
	s_clause 0x2
	global_store_b32 v[15:16], v43, off
	global_store_b32 v[26:27], v44, off
	;; [unrolled: 1-line block ×3, first 2 shown]
	v_lshlrev_b64_e32 v[15:16], 2, v[32:33]
	v_mov_b32_e32 v14, v38
	v_add_nc_u32_e32 v36, 0x157, v39
	v_add_nc_u32_e32 v42, 0x2ae, v39
	v_pack_b32_f16 v43, v65, v62
	v_mov_b32_e32 v35, v41
	v_mad_co_u64_u32 v[26:27], null, s17, v39, v[14:15]
	v_mad_co_u64_u32 v[27:28], null, s16, v36, 0
	v_add_co_u32 v14, vcc_lo, v12, v15
	v_mad_co_u64_u32 v[32:33], null, s16, v42, 0
	s_delay_alu instid0(VALU_DEP_4)
	v_mov_b32_e32 v38, v26
	s_wait_alu 0xfffd
	v_add_co_ci_u32_e32 v15, vcc_lo, v13, v16, vcc_lo
	v_lshlrev_b64_e32 v[16:17], 2, v[34:35]
	v_mov_b32_e32 v26, v28
	v_lshlrev_b64_e32 v[28:29], 2, v[37:38]
	v_pack_b32_f16 v41, v67, v66
	s_delay_alu instid0(VALU_DEP_3)
	v_mad_co_u64_u32 v[34:35], null, s17, v36, v[26:27]
	v_add_co_u32 v16, vcc_lo, v12, v16
	v_mov_b32_e32 v26, v33
	s_wait_alu 0xfffd
	v_add_co_ci_u32_e32 v17, vcc_lo, v13, v17, vcc_lo
	v_add_co_u32 v35, vcc_lo, v12, v28
	s_wait_alu 0xfffd
	v_add_co_ci_u32_e32 v36, vcc_lo, v13, v29, vcc_lo
	v_mad_co_u64_u32 v[37:38], null, s17, v42, v[26:27]
	v_pack_b32_f16 v26, v85, v84
	v_mov_b32_e32 v28, v34
	v_add_nc_u32_e32 v34, 0x405, v39
	s_clause 0x1
	global_store_b32 v[14:15], v41, off
	global_store_b32 v[16:17], v43, off
	v_add_nc_u32_e32 v41, 0xc4, v46
	global_store_b32 v[35:36], v26, off
	v_add_nc_u32_e32 v35, 0x55c, v39
	v_mad_co_u64_u32 v[16:17], null, s16, v34, 0
	v_lshlrev_b64_e32 v[14:15], 2, v[27:28]
	v_mov_b32_e32 v33, v37
	s_delay_alu instid0(VALU_DEP_4) | instskip(SKIP_2) | instid1(VALU_DEP_4)
	v_mad_co_u64_u32 v[28:29], null, s16, v35, 0
	v_add_nc_u32_e32 v38, 0x6b3, v39
	v_pack_b32_f16 v37, v64, v63
	v_lshlrev_b64_e32 v[26:27], 2, v[32:33]
	v_mad_co_u64_u32 v[32:33], null, s17, v34, v[17:18]
	v_add_co_u32 v14, vcc_lo, v12, v14
	v_mov_b32_e32 v17, v29
	v_mad_co_u64_u32 v[33:34], null, s16, v38, 0
	s_wait_alu 0xfffd
	v_add_co_ci_u32_e32 v15, vcc_lo, v13, v15, vcc_lo
	s_delay_alu instid0(VALU_DEP_3)
	v_mad_co_u64_u32 v[35:36], null, s17, v35, v[17:18]
	v_mov_b32_e32 v17, v32
	v_mul_hi_u32 v32, 0xbf112a8b, v41
	v_add_co_u32 v26, vcc_lo, v12, v26
	s_wait_alu 0xfffd
	v_add_co_ci_u32_e32 v27, vcc_lo, v13, v27, vcc_lo
	v_pack_b32_f16 v29, v61, v83
	global_store_b32 v[14:15], v37, off
	v_lshlrev_b64_e32 v[15:16], 2, v[16:17]
	v_lshrrev_b32_e32 v32, 8, v32
	v_mov_b32_e32 v14, v34
	global_store_b32 v[26:27], v29, off
	v_mov_b32_e32 v29, v35
	v_add_nc_u32_e32 v35, 0x80a, v39
	v_mul_u32_u24_e32 v36, 0x157, v32
	v_mad_co_u64_u32 v[26:27], null, s17, v38, v[14:15]
	v_add_co_u32 v14, vcc_lo, v12, v15
	s_wait_alu 0xfffd
	v_add_co_ci_u32_e32 v15, vcc_lo, v13, v16, vcc_lo
	v_lshlrev_b64_e32 v[16:17], 2, v[28:29]
	v_sub_nc_u32_e32 v28, v41, v36
	v_mov_b32_e32 v34, v26
	v_mad_co_u64_u32 v[26:27], null, s16, v35, 0
	v_pack_b32_f16 v42, v82, v81
	s_delay_alu instid0(VALU_DEP_4) | instskip(NEXT) | instid1(VALU_DEP_4)
	v_mad_u32_u24 v39, 0x961, v32, v28
	v_lshlrev_b64_e32 v[28:29], 2, v[33:34]
	v_add_co_u32 v16, vcc_lo, v12, v16
	s_wait_alu 0xfffd
	v_add_co_ci_u32_e32 v17, vcc_lo, v13, v17, vcc_lo
	v_mad_co_u64_u32 v[32:33], null, s16, v39, 0
	s_delay_alu instid0(VALU_DEP_4) | instskip(SKIP_4) | instid1(VALU_DEP_4)
	v_mad_co_u64_u32 v[34:35], null, s17, v35, v[27:28]
	v_add_nc_u32_e32 v43, 0x157, v39
	v_add_co_u32 v28, vcc_lo, v12, v28
	v_pack_b32_f16 v41, v80, v79
	v_mov_b32_e32 v27, v33
	v_mad_co_u64_u32 v[35:36], null, s16, v43, 0
	s_wait_alu 0xfffd
	v_add_co_ci_u32_e32 v29, vcc_lo, v13, v29, vcc_lo
	s_delay_alu instid0(VALU_DEP_3)
	v_mad_co_u64_u32 v[37:38], null, s17, v39, v[27:28]
	v_mov_b32_e32 v27, v34
	v_pack_b32_f16 v33, v78, v74
	s_clause 0x2
	global_store_b32 v[14:15], v42, off
	global_store_b32 v[16:17], v41, off
	;; [unrolled: 1-line block ×3, first 2 shown]
	v_lshlrev_b64_e32 v[15:16], 2, v[26:27]
	v_mov_b32_e32 v14, v36
	v_dual_mov_b32 v33, v37 :: v_dual_add_nc_u32 v34, 0x2ae, v39
	v_add_nc_u32_e32 v37, 0x405, v39
	v_pack_b32_f16 v41, v73, v68
	s_delay_alu instid0(VALU_DEP_4) | instskip(NEXT) | instid1(VALU_DEP_4)
	v_mad_co_u64_u32 v[26:27], null, s17, v43, v[14:15]
	v_mad_co_u64_u32 v[27:28], null, s16, v34, 0
	v_add_co_u32 v14, vcc_lo, v12, v15
	s_wait_alu 0xfffd
	v_add_co_ci_u32_e32 v15, vcc_lo, v13, v16, vcc_lo
	v_lshlrev_b64_e32 v[16:17], 2, v[32:33]
	v_mad_co_u64_u32 v[32:33], null, s16, v37, 0
	v_mov_b32_e32 v36, v26
	v_mov_b32_e32 v26, v28
	v_pack_b32_f16 v42, v77, v76
	v_add_co_u32 v16, vcc_lo, v12, v16
	s_delay_alu instid0(VALU_DEP_4) | instskip(NEXT) | instid1(VALU_DEP_4)
	v_lshlrev_b64_e32 v[28:29], 2, v[35:36]
	v_mad_co_u64_u32 v[34:35], null, s17, v34, v[26:27]
	v_mov_b32_e32 v26, v33
	s_wait_alu 0xfffd
	v_add_co_ci_u32_e32 v17, vcc_lo, v13, v17, vcc_lo
	s_delay_alu instid0(VALU_DEP_4) | instskip(NEXT) | instid1(VALU_DEP_3)
	v_add_co_u32 v35, vcc_lo, v12, v28
	v_mad_co_u64_u32 v[37:38], null, s17, v37, v[26:27]
	s_wait_alu 0xfffd
	v_add_co_ci_u32_e32 v36, vcc_lo, v13, v29, vcc_lo
	v_pack_b32_f16 v26, v72, v71
	v_mov_b32_e32 v28, v34
	s_clause 0x1
	global_store_b32 v[14:15], v41, off
	global_store_b32 v[16:17], v42, off
	v_dual_mov_b32 v33, v37 :: v_dual_add_nc_u32 v34, 0x55c, v39
	global_store_b32 v[35:36], v26, off
	v_add_nc_u32_e32 v36, 0x6b3, v39
	v_add_nc_u32_e32 v37, 0xf5, v46
	v_lshlrev_b64_e32 v[14:15], 2, v[27:28]
	v_mad_co_u64_u32 v[16:17], null, s16, v34, 0
	s_delay_alu instid0(VALU_DEP_4) | instskip(NEXT) | instid1(VALU_DEP_4)
	v_mad_co_u64_u32 v[28:29], null, s16, v36, 0
	v_mul_hi_u32 v38, 0xbf112a8b, v37
	v_lshlrev_b64_e32 v[26:27], 2, v[32:33]
	v_add_nc_u32_e32 v39, 0x80a, v39
	v_add_co_u32 v14, vcc_lo, v12, v14
	v_mad_co_u64_u32 v[32:33], null, s17, v34, v[17:18]
	v_mov_b32_e32 v17, v29
	v_lshrrev_b32_e32 v38, 8, v38
	v_pack_b32_f16 v29, v19, v18
	s_wait_alu 0xfffd
	v_add_co_ci_u32_e32 v15, vcc_lo, v13, v15, vcc_lo
	v_mad_co_u64_u32 v[18:19], null, s17, v36, v[17:18]
	v_mul_u32_u24_e32 v19, 0x157, v38
	v_mad_co_u64_u32 v[33:34], null, s16, v39, 0
	v_add_co_u32 v26, vcc_lo, v12, v26
	s_delay_alu instid0(VALU_DEP_3)
	v_sub_nc_u32_e32 v19, v37, v19
	v_pack_b32_f16 v35, v70, v69
	s_wait_alu 0xfffd
	v_add_co_ci_u32_e32 v27, vcc_lo, v13, v27, vcc_lo
	s_clause 0x1
	global_store_b32 v[14:15], v35, off
	global_store_b32 v[26:27], v29, off
	v_mad_u32_u24 v38, 0x961, v38, v19
	v_dual_mov_b32 v17, v32 :: v_dual_mov_b32 v14, v34
	v_mov_b32_e32 v29, v18
	v_pack_b32_f16 v41, v58, v57
	s_delay_alu instid0(VALU_DEP_4) | instskip(NEXT) | instid1(VALU_DEP_4)
	v_mad_co_u64_u32 v[26:27], null, s16, v38, 0
	v_lshlrev_b64_e32 v[15:16], 2, v[16:17]
	v_add_nc_u32_e32 v36, 0x157, v38
	v_add_nc_u32_e32 v42, 0x2ae, v38
	s_delay_alu instid0(VALU_DEP_3)
	v_mad_co_u64_u32 v[17:18], null, s17, v39, v[14:15]
	v_lshlrev_b64_e32 v[18:19], 2, v[28:29]
	v_add_co_u32 v14, vcc_lo, v12, v15
	s_wait_alu 0xfffd
	v_add_co_ci_u32_e32 v15, vcc_lo, v13, v16, vcc_lo
	v_pack_b32_f16 v39, v75, v59
	v_mov_b32_e32 v34, v17
	v_add_co_u32 v16, vcc_lo, v12, v18
	v_mov_b32_e32 v18, v27
	s_wait_alu 0xfffd
	v_add_co_ci_u32_e32 v17, vcc_lo, v13, v19, vcc_lo
	v_lshlrev_b64_e32 v[27:28], 2, v[33:34]
	v_mad_co_u64_u32 v[32:33], null, s16, v36, 0
	v_mad_co_u64_u32 v[18:19], null, s17, v38, v[18:19]
	s_delay_alu instid0(VALU_DEP_3) | instskip(SKIP_1) | instid1(VALU_DEP_4)
	v_add_co_u32 v34, vcc_lo, v12, v27
	s_wait_alu 0xfffd
	v_add_co_ci_u32_e32 v35, vcc_lo, v13, v28, vcc_lo
	v_mad_co_u64_u32 v[28:29], null, s16, v42, 0
	s_delay_alu instid0(VALU_DEP_4)
	v_mov_b32_e32 v27, v18
	v_mov_b32_e32 v19, v33
	v_pack_b32_f16 v33, v56, v55
	s_clause 0x2
	global_store_b32 v[14:15], v39, off
	global_store_b32 v[16:17], v41, off
	;; [unrolled: 1-line block ×3, first 2 shown]
	v_lshlrev_b64_e32 v[15:16], 2, v[26:27]
	v_mov_b32_e32 v14, v29
	v_mad_co_u64_u32 v[36:37], null, s17, v36, v[19:20]
	v_add_nc_u32_e32 v34, 0x405, v38
	v_add_nc_u32_e32 v39, 0x126, v46
	s_delay_alu instid0(VALU_DEP_4) | instskip(SKIP_3) | instid1(VALU_DEP_4)
	v_mad_co_u64_u32 v[17:18], null, s17, v42, v[14:15]
	v_add_co_u32 v14, vcc_lo, v12, v15
	v_mov_b32_e32 v33, v36
	v_mad_co_u64_u32 v[18:19], null, s16, v34, 0
	v_dual_mov_b32 v29, v17 :: v_dual_add_nc_u32 v36, 0x55c, v38
	s_delay_alu instid0(VALU_DEP_3)
	v_lshlrev_b64_e32 v[26:27], 2, v[32:33]
	s_wait_alu 0xfffd
	v_add_co_ci_u32_e32 v15, vcc_lo, v13, v16, vcc_lo
	v_mul_hi_u32 v41, 0xbf112a8b, v39
	v_lshlrev_b64_e32 v[28:29], 2, v[28:29]
	v_mad_co_u64_u32 v[32:33], null, s16, v36, 0
	v_add_co_u32 v26, vcc_lo, v12, v26
	v_mov_b32_e32 v16, v19
	s_wait_alu 0xfffd
	v_add_co_ci_u32_e32 v27, vcc_lo, v13, v27, vcc_lo
	v_pack_b32_f16 v35, v49, v48
	v_add_co_u32 v28, vcc_lo, v12, v28
	v_pack_b32_f16 v37, v54, v53
	s_wait_alu 0xfffd
	v_add_co_ci_u32_e32 v29, vcc_lo, v13, v29, vcc_lo
	v_pack_b32_f16 v42, v51, v50
	v_mad_co_u64_u32 v[16:17], null, s17, v34, v[16:17]
	s_clause 0x2
	global_store_b32 v[14:15], v35, off
	global_store_b32 v[26:27], v37, off
	;; [unrolled: 1-line block ×3, first 2 shown]
	v_lshrrev_b32_e32 v26, 8, v41
	v_mov_b32_e32 v17, v33
	v_add_nc_u32_e32 v35, 0x80a, v38
	s_delay_alu instid0(VALU_DEP_3) | instskip(NEXT) | instid1(VALU_DEP_3)
	v_mul_u32_u24_e32 v27, 0x157, v26
	v_mad_co_u64_u32 v[33:34], null, s17, v36, v[17:18]
	v_dual_mov_b32 v19, v16 :: v_dual_add_nc_u32 v34, 0x6b3, v38
	s_delay_alu instid0(VALU_DEP_3) | instskip(SKIP_1) | instid1(VALU_DEP_3)
	v_sub_nc_u32_e32 v27, v39, v27
	v_pack_b32_f16 v36, v47, v40
	v_lshlrev_b64_e32 v[14:15], 2, v[18:19]
	s_delay_alu instid0(VALU_DEP_4)
	v_mad_co_u64_u32 v[16:17], null, s16, v34, 0
	v_mad_co_u64_u32 v[18:19], null, s16, v35, 0
	v_mad_u32_u24 v37, 0x961, v26, v27
	v_lshlrev_b64_e32 v[26:27], 2, v[32:33]
	v_add_co_u32 v14, vcc_lo, v12, v14
	s_wait_alu 0xfffd
	v_add_co_ci_u32_e32 v15, vcc_lo, v13, v15, vcc_lo
	v_mad_co_u64_u32 v[28:29], null, s16, v37, 0
	v_mad_co_u64_u32 v[32:33], null, s17, v34, v[17:18]
	;; [unrolled: 1-line block ×3, first 2 shown]
	v_add_co_u32 v26, vcc_lo, v12, v26
	s_delay_alu instid0(VALU_DEP_4) | instskip(NEXT) | instid1(VALU_DEP_4)
	v_mad_co_u64_u32 v[29:30], null, s17, v37, v[29:30]
	v_dual_mov_b32 v17, v32 :: v_dual_add_nc_u32 v30, 0x157, v37
	s_delay_alu instid0(VALU_DEP_4)
	v_mov_b32_e32 v19, v33
	global_store_b32 v[14:15], v36, off
	s_wait_alu 0xfffd
	v_add_co_ci_u32_e32 v27, vcc_lo, v13, v27, vcc_lo
	v_lshlrev_b64_e32 v[14:15], 2, v[16:17]
	v_lshlrev_b64_e32 v[16:17], 2, v[18:19]
	v_mad_co_u64_u32 v[18:19], null, s16, v30, 0
	global_store_b32 v[26:27], v31, off
	v_pack_b32_f16 v31, v25, v24
	v_add_co_u32 v14, vcc_lo, v12, v14
	v_lshlrev_b64_e32 v[24:25], 2, v[28:29]
	s_wait_alu 0xfffd
	v_add_co_ci_u32_e32 v15, vcc_lo, v13, v15, vcc_lo
	v_add_co_u32 v16, vcc_lo, v12, v16
	v_mad_co_u64_u32 v[26:27], null, s17, v30, v[19:20]
	s_wait_alu 0xfffd
	v_add_co_ci_u32_e32 v17, vcc_lo, v13, v17, vcc_lo
	v_pack_b32_f16 v27, v23, v22
	v_add_co_u32 v22, vcc_lo, v12, v24
	s_wait_alu 0xfffd
	v_add_co_ci_u32_e32 v23, vcc_lo, v13, v25, vcc_lo
	v_add_nc_u32_e32 v24, 0x2ae, v37
	v_add_nc_u32_e32 v25, 0x405, v37
	v_dual_mov_b32 v19, v26 :: v_dual_add_nc_u32 v26, 0x55c, v37
	s_clause 0x1
	global_store_b32 v[14:15], v31, off
	global_store_b32 v[16:17], v27, off
	v_mad_co_u64_u32 v[14:15], null, s16, v24, 0
	v_mad_co_u64_u32 v[16:17], null, s16, v25, 0
	global_store_b32 v[22:23], v8, off
	v_lshlrev_b64_e32 v[8:9], 2, v[18:19]
	v_mad_co_u64_u32 v[18:19], null, s16, v26, 0
	v_pack_b32_f16 v27, v21, v20
	v_add_nc_u32_e32 v28, 0x6b3, v37
	v_mad_co_u64_u32 v[22:23], null, s17, v24, v[15:16]
	v_add_co_u32 v8, vcc_lo, v12, v8
	v_mad_co_u64_u32 v[20:21], null, s17, v25, v[17:18]
	v_mov_b32_e32 v17, v19
	v_mad_co_u64_u32 v[23:24], null, s16, v28, 0
	v_mov_b32_e32 v15, v22
	s_wait_alu 0xfffd
	v_add_co_ci_u32_e32 v9, vcc_lo, v13, v9, vcc_lo
	v_mad_co_u64_u32 v[21:22], null, s17, v26, v[17:18]
	v_add_nc_u32_e32 v22, 0x80a, v37
	global_store_b32 v[8:9], v27, off
	v_lshlrev_b64_e32 v[8:9], 2, v[14:15]
	v_dual_mov_b32 v17, v20 :: v_dual_mov_b32 v14, v24
	v_mad_co_u64_u32 v[25:26], null, s16, v22, 0
	v_mov_b32_e32 v19, v21
	v_pack_b32_f16 v20, v11, v10
	s_delay_alu instid0(VALU_DEP_4) | instskip(SKIP_1) | instid1(VALU_DEP_4)
	v_mad_co_u64_u32 v[14:15], null, s17, v28, v[14:15]
	v_lshlrev_b64_e32 v[10:11], 2, v[16:17]
	v_lshlrev_b64_e32 v[16:17], 2, v[18:19]
	v_mov_b32_e32 v15, v26
	v_add_co_u32 v8, vcc_lo, v12, v8
	s_wait_alu 0xfffd
	v_add_co_ci_u32_e32 v9, vcc_lo, v13, v9, vcc_lo
	s_delay_alu instid0(VALU_DEP_3)
	v_mad_co_u64_u32 v[18:19], null, s17, v22, v[15:16]
	v_mov_b32_e32 v24, v14
	v_add_co_u32 v10, vcc_lo, v12, v10
	v_pack_b32_f16 v19, v7, v6
	s_wait_alu 0xfffd
	v_add_co_ci_u32_e32 v11, vcc_lo, v13, v11, vcc_lo
	v_mov_b32_e32 v26, v18
	v_lshlrev_b64_e32 v[6:7], 2, v[23:24]
	v_add_co_u32 v14, vcc_lo, v12, v16
	v_pack_b32_f16 v16, v5, v4
	s_delay_alu instid0(VALU_DEP_4)
	v_lshlrev_b64_e32 v[4:5], 2, v[25:26]
	s_wait_alu 0xfffd
	v_add_co_ci_u32_e32 v15, vcc_lo, v13, v17, vcc_lo
	v_add_co_u32 v6, vcc_lo, v12, v6
	s_wait_alu 0xfffd
	v_add_co_ci_u32_e32 v7, vcc_lo, v13, v7, vcc_lo
	v_pack_b32_f16 v17, v3, v2
	v_add_co_u32 v2, vcc_lo, v12, v4
	s_wait_alu 0xfffd
	v_add_co_ci_u32_e32 v3, vcc_lo, v13, v5, vcc_lo
	s_clause 0x4
	global_store_b32 v[8:9], v20, off
	global_store_b32 v[10:11], v19, off
	global_store_b32 v[14:15], v16, off
	global_store_b32 v[6:7], v17, off
	global_store_b32 v[2:3], v0, off
.LBB0_15:
	s_nop 0
	s_sendmsg sendmsg(MSG_DEALLOC_VGPRS)
	s_endpgm
	.section	.rodata,"a",@progbits
	.p2align	6, 0x0
	.amdhsa_kernel fft_rtc_back_len2401_factors_7_7_7_7_wgs_49_tpt_49_halfLds_half_op_CI_CI_sbrr_dirReg
		.amdhsa_group_segment_fixed_size 0
		.amdhsa_private_segment_fixed_size 0
		.amdhsa_kernarg_size 104
		.amdhsa_user_sgpr_count 2
		.amdhsa_user_sgpr_dispatch_ptr 0
		.amdhsa_user_sgpr_queue_ptr 0
		.amdhsa_user_sgpr_kernarg_segment_ptr 1
		.amdhsa_user_sgpr_dispatch_id 0
		.amdhsa_user_sgpr_private_segment_size 0
		.amdhsa_wavefront_size32 1
		.amdhsa_uses_dynamic_stack 0
		.amdhsa_enable_private_segment 0
		.amdhsa_system_sgpr_workgroup_id_x 1
		.amdhsa_system_sgpr_workgroup_id_y 0
		.amdhsa_system_sgpr_workgroup_id_z 0
		.amdhsa_system_sgpr_workgroup_info 0
		.amdhsa_system_vgpr_workitem_id 0
		.amdhsa_next_free_vgpr 179
		.amdhsa_next_free_sgpr 43
		.amdhsa_reserve_vcc 1
		.amdhsa_float_round_mode_32 0
		.amdhsa_float_round_mode_16_64 0
		.amdhsa_float_denorm_mode_32 3
		.amdhsa_float_denorm_mode_16_64 3
		.amdhsa_fp16_overflow 0
		.amdhsa_workgroup_processor_mode 1
		.amdhsa_memory_ordered 1
		.amdhsa_forward_progress 0
		.amdhsa_round_robin_scheduling 0
		.amdhsa_exception_fp_ieee_invalid_op 0
		.amdhsa_exception_fp_denorm_src 0
		.amdhsa_exception_fp_ieee_div_zero 0
		.amdhsa_exception_fp_ieee_overflow 0
		.amdhsa_exception_fp_ieee_underflow 0
		.amdhsa_exception_fp_ieee_inexact 0
		.amdhsa_exception_int_div_zero 0
	.end_amdhsa_kernel
	.text
.Lfunc_end0:
	.size	fft_rtc_back_len2401_factors_7_7_7_7_wgs_49_tpt_49_halfLds_half_op_CI_CI_sbrr_dirReg, .Lfunc_end0-fft_rtc_back_len2401_factors_7_7_7_7_wgs_49_tpt_49_halfLds_half_op_CI_CI_sbrr_dirReg
                                        ; -- End function
	.section	.AMDGPU.csdata,"",@progbits
; Kernel info:
; codeLenInByte = 35356
; NumSgprs: 45
; NumVgprs: 179
; ScratchSize: 0
; MemoryBound: 0
; FloatMode: 240
; IeeeMode: 1
; LDSByteSize: 0 bytes/workgroup (compile time only)
; SGPRBlocks: 5
; VGPRBlocks: 22
; NumSGPRsForWavesPerEU: 45
; NumVGPRsForWavesPerEU: 179
; Occupancy: 8
; WaveLimiterHint : 1
; COMPUTE_PGM_RSRC2:SCRATCH_EN: 0
; COMPUTE_PGM_RSRC2:USER_SGPR: 2
; COMPUTE_PGM_RSRC2:TRAP_HANDLER: 0
; COMPUTE_PGM_RSRC2:TGID_X_EN: 1
; COMPUTE_PGM_RSRC2:TGID_Y_EN: 0
; COMPUTE_PGM_RSRC2:TGID_Z_EN: 0
; COMPUTE_PGM_RSRC2:TIDIG_COMP_CNT: 0
	.text
	.p2alignl 7, 3214868480
	.fill 96, 4, 3214868480
	.type	__hip_cuid_a13f1f884bd9bec6,@object ; @__hip_cuid_a13f1f884bd9bec6
	.section	.bss,"aw",@nobits
	.globl	__hip_cuid_a13f1f884bd9bec6
__hip_cuid_a13f1f884bd9bec6:
	.byte	0                               ; 0x0
	.size	__hip_cuid_a13f1f884bd9bec6, 1

	.ident	"AMD clang version 19.0.0git (https://github.com/RadeonOpenCompute/llvm-project roc-6.4.0 25133 c7fe45cf4b819c5991fe208aaa96edf142730f1d)"
	.section	".note.GNU-stack","",@progbits
	.addrsig
	.addrsig_sym __hip_cuid_a13f1f884bd9bec6
	.amdgpu_metadata
---
amdhsa.kernels:
  - .args:
      - .actual_access:  read_only
        .address_space:  global
        .offset:         0
        .size:           8
        .value_kind:     global_buffer
      - .offset:         8
        .size:           8
        .value_kind:     by_value
      - .actual_access:  read_only
        .address_space:  global
        .offset:         16
        .size:           8
        .value_kind:     global_buffer
      - .actual_access:  read_only
        .address_space:  global
        .offset:         24
        .size:           8
        .value_kind:     global_buffer
      - .actual_access:  read_only
        .address_space:  global
        .offset:         32
        .size:           8
        .value_kind:     global_buffer
      - .offset:         40
        .size:           8
        .value_kind:     by_value
      - .actual_access:  read_only
        .address_space:  global
        .offset:         48
        .size:           8
        .value_kind:     global_buffer
      - .actual_access:  read_only
        .address_space:  global
        .offset:         56
        .size:           8
        .value_kind:     global_buffer
      - .offset:         64
        .size:           4
        .value_kind:     by_value
      - .actual_access:  read_only
        .address_space:  global
        .offset:         72
        .size:           8
        .value_kind:     global_buffer
      - .actual_access:  read_only
        .address_space:  global
        .offset:         80
        .size:           8
        .value_kind:     global_buffer
      - .actual_access:  read_only
        .address_space:  global
        .offset:         88
        .size:           8
        .value_kind:     global_buffer
      - .actual_access:  write_only
        .address_space:  global
        .offset:         96
        .size:           8
        .value_kind:     global_buffer
    .group_segment_fixed_size: 0
    .kernarg_segment_align: 8
    .kernarg_segment_size: 104
    .language:       OpenCL C
    .language_version:
      - 2
      - 0
    .max_flat_workgroup_size: 49
    .name:           fft_rtc_back_len2401_factors_7_7_7_7_wgs_49_tpt_49_halfLds_half_op_CI_CI_sbrr_dirReg
    .private_segment_fixed_size: 0
    .sgpr_count:     45
    .sgpr_spill_count: 0
    .symbol:         fft_rtc_back_len2401_factors_7_7_7_7_wgs_49_tpt_49_halfLds_half_op_CI_CI_sbrr_dirReg.kd
    .uniform_work_group_size: 1
    .uses_dynamic_stack: false
    .vgpr_count:     179
    .vgpr_spill_count: 0
    .wavefront_size: 32
    .workgroup_processor_mode: 1
amdhsa.target:   amdgcn-amd-amdhsa--gfx1201
amdhsa.version:
  - 1
  - 2
...

	.end_amdgpu_metadata
